;; amdgpu-corpus repo=ROCm/rocFFT kind=compiled arch=gfx950 opt=O3
	.text
	.amdgcn_target "amdgcn-amd-amdhsa--gfx950"
	.amdhsa_code_object_version 6
	.protected	fft_rtc_fwd_len4050_factors_10_5_3_3_3_3_wgs_135_tpt_135_halfLds_dp_op_CI_CI_unitstride_sbrr_R2C_dirReg ; -- Begin function fft_rtc_fwd_len4050_factors_10_5_3_3_3_3_wgs_135_tpt_135_halfLds_dp_op_CI_CI_unitstride_sbrr_R2C_dirReg
	.globl	fft_rtc_fwd_len4050_factors_10_5_3_3_3_3_wgs_135_tpt_135_halfLds_dp_op_CI_CI_unitstride_sbrr_R2C_dirReg
	.p2align	8
	.type	fft_rtc_fwd_len4050_factors_10_5_3_3_3_3_wgs_135_tpt_135_halfLds_dp_op_CI_CI_unitstride_sbrr_R2C_dirReg,@function
fft_rtc_fwd_len4050_factors_10_5_3_3_3_3_wgs_135_tpt_135_halfLds_dp_op_CI_CI_unitstride_sbrr_R2C_dirReg: ; @fft_rtc_fwd_len4050_factors_10_5_3_3_3_3_wgs_135_tpt_135_halfLds_dp_op_CI_CI_unitstride_sbrr_R2C_dirReg
; %bb.0:
	s_load_dwordx4 s[4:7], s[0:1], 0x58
	s_load_dwordx4 s[8:11], s[0:1], 0x0
	;; [unrolled: 1-line block ×3, first 2 shown]
	v_mul_u32_u24_e32 v1, 0x1e6, v0
	v_add_u32_sdwa v6, s2, v1 dst_sel:DWORD dst_unused:UNUSED_PAD src0_sel:DWORD src1_sel:WORD_1
	v_mov_b32_e32 v4, 0
	s_waitcnt lgkmcnt(0)
	v_cmp_lt_u64_e64 s[2:3], s[10:11], 2
	v_mov_b32_e32 v7, v4
	s_and_b64 vcc, exec, s[2:3]
	v_mov_b64_e32 v[2:3], 0
	s_cbranch_vccnz .LBB0_8
; %bb.1:
	s_load_dwordx2 s[2:3], s[0:1], 0x10
	s_add_u32 s16, s14, 8
	s_addc_u32 s17, s15, 0
	s_add_u32 s18, s12, 8
	s_addc_u32 s19, s13, 0
	s_waitcnt lgkmcnt(0)
	s_add_u32 s20, s2, 8
	v_mov_b64_e32 v[2:3], 0
	s_addc_u32 s21, s3, 0
	s_mov_b64 s[22:23], 1
	v_mov_b64_e32 v[120:121], v[2:3]
.LBB0_2:                                ; =>This Inner Loop Header: Depth=1
	s_load_dwordx2 s[24:25], s[20:21], 0x0
                                        ; implicit-def: $vgpr124_vgpr125
	s_waitcnt lgkmcnt(0)
	v_or_b32_e32 v5, s25, v7
	v_cmp_ne_u64_e32 vcc, 0, v[4:5]
	s_and_saveexec_b64 s[2:3], vcc
	s_xor_b64 s[26:27], exec, s[2:3]
	s_cbranch_execz .LBB0_4
; %bb.3:                                ;   in Loop: Header=BB0_2 Depth=1
	v_cvt_f32_u32_e32 v1, s24
	v_cvt_f32_u32_e32 v5, s25
	s_sub_u32 s2, 0, s24
	s_subb_u32 s3, 0, s25
	v_fmac_f32_e32 v1, 0x4f800000, v5
	v_rcp_f32_e32 v1, v1
	s_nop 0
	v_mul_f32_e32 v1, 0x5f7ffffc, v1
	v_mul_f32_e32 v5, 0x2f800000, v1
	v_trunc_f32_e32 v5, v5
	v_fmac_f32_e32 v1, 0xcf800000, v5
	v_cvt_u32_f32_e32 v5, v5
	v_cvt_u32_f32_e32 v1, v1
	v_mul_lo_u32 v8, s2, v5
	v_mul_hi_u32 v10, s2, v1
	v_mul_lo_u32 v9, s3, v1
	v_add_u32_e32 v10, v10, v8
	v_mul_lo_u32 v12, s2, v1
	v_add_u32_e32 v13, v10, v9
	v_mul_hi_u32 v8, v1, v12
	v_mul_hi_u32 v11, v1, v13
	v_mul_lo_u32 v10, v1, v13
	v_mov_b32_e32 v9, v4
	v_lshl_add_u64 v[8:9], v[8:9], 0, v[10:11]
	v_mul_hi_u32 v11, v5, v12
	v_mul_lo_u32 v12, v5, v12
	v_add_co_u32_e32 v8, vcc, v8, v12
	v_mul_hi_u32 v10, v5, v13
	s_nop 0
	v_addc_co_u32_e32 v8, vcc, v9, v11, vcc
	v_mov_b32_e32 v9, v4
	s_nop 0
	v_addc_co_u32_e32 v11, vcc, 0, v10, vcc
	v_mul_lo_u32 v10, v5, v13
	v_lshl_add_u64 v[8:9], v[8:9], 0, v[10:11]
	v_add_co_u32_e32 v1, vcc, v1, v8
	v_mul_lo_u32 v10, s2, v1
	s_nop 0
	v_addc_co_u32_e32 v5, vcc, v5, v9, vcc
	v_mul_lo_u32 v8, s2, v5
	v_mul_hi_u32 v9, s2, v1
	v_add_u32_e32 v8, v9, v8
	v_mul_lo_u32 v9, s3, v1
	v_add_u32_e32 v12, v8, v9
	v_mul_hi_u32 v14, v5, v10
	v_mul_lo_u32 v15, v5, v10
	v_mul_hi_u32 v9, v1, v12
	v_mul_lo_u32 v8, v1, v12
	v_mul_hi_u32 v10, v1, v10
	v_mov_b32_e32 v11, v4
	v_lshl_add_u64 v[8:9], v[10:11], 0, v[8:9]
	v_add_co_u32_e32 v8, vcc, v8, v15
	v_mul_hi_u32 v13, v5, v12
	s_nop 0
	v_addc_co_u32_e32 v8, vcc, v9, v14, vcc
	v_mul_lo_u32 v10, v5, v12
	s_nop 0
	v_addc_co_u32_e32 v11, vcc, 0, v13, vcc
	v_mov_b32_e32 v9, v4
	v_lshl_add_u64 v[8:9], v[8:9], 0, v[10:11]
	v_add_co_u32_e32 v1, vcc, v1, v8
	v_mul_hi_u32 v10, v6, v1
	s_nop 0
	v_addc_co_u32_e32 v5, vcc, v5, v9, vcc
	v_mad_u64_u32 v[8:9], s[2:3], v6, v5, 0
	v_mov_b32_e32 v11, v4
	v_lshl_add_u64 v[8:9], v[10:11], 0, v[8:9]
	v_mad_u64_u32 v[12:13], s[2:3], v7, v1, 0
	v_add_co_u32_e32 v1, vcc, v8, v12
	v_mad_u64_u32 v[10:11], s[2:3], v7, v5, 0
	s_nop 0
	v_addc_co_u32_e32 v8, vcc, v9, v13, vcc
	v_mov_b32_e32 v9, v4
	s_nop 0
	v_addc_co_u32_e32 v11, vcc, 0, v11, vcc
	v_lshl_add_u64 v[8:9], v[8:9], 0, v[10:11]
	v_mul_lo_u32 v1, s25, v8
	v_mul_lo_u32 v5, s24, v9
	v_mad_u64_u32 v[10:11], s[2:3], s24, v8, 0
	v_add3_u32 v1, v11, v5, v1
	v_sub_u32_e32 v5, v7, v1
	v_mov_b32_e32 v11, s25
	v_sub_co_u32_e32 v14, vcc, v6, v10
	v_lshl_add_u64 v[12:13], v[8:9], 0, 1
	s_nop 0
	v_subb_co_u32_e64 v5, s[2:3], v5, v11, vcc
	v_subrev_co_u32_e64 v10, s[2:3], s24, v14
	v_subb_co_u32_e32 v1, vcc, v7, v1, vcc
	s_nop 0
	v_subbrev_co_u32_e64 v5, s[2:3], 0, v5, s[2:3]
	v_cmp_le_u32_e64 s[2:3], s25, v5
	v_cmp_le_u32_e32 vcc, s25, v1
	s_nop 0
	v_cndmask_b32_e64 v11, 0, -1, s[2:3]
	v_cmp_le_u32_e64 s[2:3], s24, v10
	s_nop 1
	v_cndmask_b32_e64 v10, 0, -1, s[2:3]
	v_cmp_eq_u32_e64 s[2:3], s25, v5
	s_nop 1
	v_cndmask_b32_e64 v5, v11, v10, s[2:3]
	v_lshl_add_u64 v[10:11], v[8:9], 0, 2
	v_cmp_ne_u32_e64 s[2:3], 0, v5
	s_nop 1
	v_cndmask_b32_e64 v5, v13, v11, s[2:3]
	v_cndmask_b32_e64 v11, 0, -1, vcc
	v_cmp_le_u32_e32 vcc, s24, v14
	s_nop 1
	v_cndmask_b32_e64 v13, 0, -1, vcc
	v_cmp_eq_u32_e32 vcc, s25, v1
	s_nop 1
	v_cndmask_b32_e32 v1, v11, v13, vcc
	v_cmp_ne_u32_e32 vcc, 0, v1
	v_cndmask_b32_e64 v1, v12, v10, s[2:3]
	s_nop 0
	v_cndmask_b32_e32 v125, v9, v5, vcc
	v_cndmask_b32_e32 v124, v8, v1, vcc
.LBB0_4:                                ;   in Loop: Header=BB0_2 Depth=1
	s_andn2_saveexec_b64 s[2:3], s[26:27]
	s_cbranch_execz .LBB0_6
; %bb.5:                                ;   in Loop: Header=BB0_2 Depth=1
	v_cvt_f32_u32_e32 v1, s24
	s_sub_i32 s26, 0, s24
	v_mov_b32_e32 v125, v4
	v_rcp_iflag_f32_e32 v1, v1
	s_nop 0
	v_mul_f32_e32 v1, 0x4f7ffffe, v1
	v_cvt_u32_f32_e32 v1, v1
	v_mul_lo_u32 v5, s26, v1
	v_mul_hi_u32 v5, v1, v5
	v_add_u32_e32 v1, v1, v5
	v_mul_hi_u32 v1, v6, v1
	v_mul_lo_u32 v5, v1, s24
	v_sub_u32_e32 v5, v6, v5
	v_add_u32_e32 v8, 1, v1
	v_subrev_u32_e32 v9, s24, v5
	v_cmp_le_u32_e32 vcc, s24, v5
	s_nop 1
	v_cndmask_b32_e32 v5, v5, v9, vcc
	v_cndmask_b32_e32 v1, v1, v8, vcc
	v_add_u32_e32 v8, 1, v1
	v_cmp_le_u32_e32 vcc, s24, v5
	s_nop 1
	v_cndmask_b32_e32 v124, v1, v8, vcc
.LBB0_6:                                ;   in Loop: Header=BB0_2 Depth=1
	s_or_b64 exec, exec, s[2:3]
	v_mad_u64_u32 v[8:9], s[2:3], v124, s24, 0
	s_load_dwordx2 s[2:3], s[18:19], 0x0
	v_mul_lo_u32 v1, v125, s24
	v_mul_lo_u32 v5, v124, s25
	s_load_dwordx2 s[24:25], s[16:17], 0x0
	s_add_u32 s22, s22, 1
	v_add3_u32 v1, v9, v5, v1
	v_sub_co_u32_e32 v5, vcc, v6, v8
	s_addc_u32 s23, s23, 0
	s_nop 0
	v_subb_co_u32_e32 v1, vcc, v7, v1, vcc
	s_add_u32 s16, s16, 8
	s_waitcnt lgkmcnt(0)
	v_mul_lo_u32 v6, s2, v1
	v_mul_lo_u32 v7, s3, v5
	v_mad_u64_u32 v[2:3], s[2:3], s2, v5, v[2:3]
	s_addc_u32 s17, s17, 0
	v_add3_u32 v3, v7, v3, v6
	v_mul_lo_u32 v1, s24, v1
	v_mul_lo_u32 v6, s25, v5
	v_mad_u64_u32 v[120:121], s[2:3], s24, v5, v[120:121]
	s_add_u32 s18, s18, 8
	v_add3_u32 v121, v6, v121, v1
	s_addc_u32 s19, s19, 0
	v_mov_b64_e32 v[6:7], s[10:11]
	s_add_u32 s20, s20, 8
	v_cmp_ge_u64_e32 vcc, s[22:23], v[6:7]
	s_addc_u32 s21, s21, 0
	s_cbranch_vccnz .LBB0_9
; %bb.7:                                ;   in Loop: Header=BB0_2 Depth=1
	v_mov_b64_e32 v[6:7], v[124:125]
	s_branch .LBB0_2
.LBB0_8:
	v_mov_b64_e32 v[120:121], v[2:3]
	v_mov_b64_e32 v[124:125], v[6:7]
.LBB0_9:
	s_load_dwordx2 s[18:19], s[0:1], 0x28
	s_lshl_b64 s[16:17], s[10:11], 3
	s_add_u32 s2, s14, s16
	s_addc_u32 s3, s15, s17
                                        ; implicit-def: $vgpr134_vgpr135
                                        ; implicit-def: $vgpr122
                                        ; implicit-def: $vgpr126
                                        ; implicit-def: $vgpr142
                                        ; implicit-def: $vgpr136
                                        ; implicit-def: $vgpr138
                                        ; implicit-def: $vgpr132
                                        ; implicit-def: $vgpr130
                                        ; implicit-def: $vgpr128
                                        ; implicit-def: $vgpr140
	s_waitcnt lgkmcnt(0)
	v_cmp_gt_u64_e64 s[0:1], s[18:19], v[124:125]
	v_cmp_le_u64_e32 vcc, s[18:19], v[124:125]
	s_and_saveexec_b64 s[10:11], vcc
	s_xor_b64 s[10:11], exec, s[10:11]
	s_cbranch_execz .LBB0_11
; %bb.10:
	s_mov_b32 s14, 0x1e573ad
	v_mul_hi_u32 v1, v0, s14
	v_mul_u32_u24_e32 v1, 0x87, v1
	v_sub_u32_e32 v122, v0, v1
	v_add_u32_e32 v135, 0x195, v122
	v_add_u32_e32 v126, 0x87, v122
	;; [unrolled: 1-line block ×9, first 2 shown]
	v_mov_b32_e32 v140, v135
                                        ; implicit-def: $vgpr0
                                        ; implicit-def: $vgpr2_vgpr3
.LBB0_11:
	s_andn2_saveexec_b64 s[10:11], s[10:11]
	s_cbranch_execz .LBB0_13
; %bb.12:
	s_add_u32 s12, s12, s16
	s_addc_u32 s13, s13, s17
	s_load_dwordx2 s[12:13], s[12:13], 0x0
	s_mov_b32 s14, 0x1e573ad
	v_mov_b32_e32 v19, 0
	s_mov_b32 s15, 0x8000
	s_waitcnt lgkmcnt(0)
	v_mul_lo_u32 v1, s13, v124
	v_mul_lo_u32 v6, s12, v125
	v_mad_u64_u32 v[4:5], s[12:13], s12, v124, 0
	v_add3_u32 v5, v5, v6, v1
	v_mul_hi_u32 v1, v0, s14
	v_mul_u32_u24_e32 v1, 0x87, v1
	v_sub_u32_e32 v122, v0, v1
	v_lshl_add_u64 v[0:1], v[4:5], 4, s[4:5]
	v_lshl_add_u64 v[16:17], v[2:3], 4, v[0:1]
	v_lshlrev_b32_e32 v18, 4, v122
	v_lshl_add_u64 v[112:113], v[16:17], 0, v[18:19]
	s_movk_i32 s4, 0x1000
	v_add_co_u32_e32 v20, vcc, s4, v112
	s_movk_i32 s4, 0x4000
	s_nop 0
	v_addc_co_u32_e32 v21, vcc, 0, v113, vcc
	v_add_co_u32_e32 v72, vcc, s4, v112
	s_movk_i32 s4, 0x2000
	s_nop 0
	v_addc_co_u32_e32 v73, vcc, 0, v113, vcc
	;; [unrolled: 4-line block ×6, first 2 shown]
	v_add_co_u32_e32 v82, vcc, s14, v112
	v_add_u32_e32 v135, 0x195, v122
	s_nop 0
	v_addc_co_u32_e32 v83, vcc, 0, v113, vcc
	v_add_u32_e32 v123, 0, v18
	v_mov_b32_e32 v18, v135
	v_add_u32_e32 v134, 0x21c, v122
	v_add_co_u32_e32 v84, vcc, s15, v112
	v_lshl_add_u64 v[22:23], v[18:19], 4, v[16:17]
	v_mov_b32_e32 v18, v134
	v_addc_co_u32_e32 v85, vcc, 0, v113, vcc
	s_mov_b32 s4, 0x9000
	global_load_dwordx4 v[0:3], v[112:113], off
	global_load_dwordx4 v[4:7], v[112:113], off offset:2160
	global_load_dwordx4 v[8:11], v[20:21], off offset:224
	global_load_dwordx4 v[12:15], v[22:23], off
	v_lshl_add_u64 v[86:87], v[18:19], 4, v[16:17]
	global_load_dwordx4 v[16:19], v[76:77], off offset:672
	global_load_dwordx4 v[20:23], v[76:77], off offset:2832
	;; [unrolled: 1-line block ×6, first 2 shown]
	global_load_dwordx4 v[40:43], v[86:87], off
	global_load_dwordx4 v[44:47], v[74:75], off offset:2608
	global_load_dwordx4 v[48:51], v[80:81], off offset:1344
	;; [unrolled: 1-line block ×7, first 2 shown]
	v_add_co_u32_e32 v80, vcc, s4, v112
	s_mov_b32 s4, 0xa000
	s_nop 0
	v_addc_co_u32_e32 v81, vcc, 0, v113, vcc
	v_add_co_u32_e32 v88, vcc, s4, v112
	s_mov_b32 s4, 0xb000
	s_nop 0
	v_addc_co_u32_e32 v89, vcc, 0, v113, vcc
	;; [unrolled: 4-line block ×4, first 2 shown]
	v_add_co_u32_e32 v114, vcc, s4, v112
	global_load_dwordx4 v[72:75], v[80:81], off offset:2016
	global_load_dwordx4 v[76:79], v[88:89], off offset:80
	v_addc_co_u32_e32 v115, vcc, 0, v113, vcc
	v_add_co_u32_e32 v116, vcc, 0xe000, v112
	global_load_dwordx4 v[80:83], v[88:89], off offset:2240
	global_load_dwordx4 v[84:87], v[96:97], off offset:304
	v_addc_co_u32_e32 v117, vcc, 0, v113, vcc
	;; [unrolled: 4-line block ×3, first 2 shown]
	global_load_dwordx4 v[96:99], v[104:105], off offset:2688
	global_load_dwordx4 v[100:103], v[114:115], off offset:752
	s_nop 0
	global_load_dwordx4 v[104:107], v[114:115], off offset:2912
	global_load_dwordx4 v[108:111], v[116:117], off offset:976
	s_nop 0
	global_load_dwordx4 v[112:115], v[116:117], off offset:3136
	s_nop 0
	global_load_dwordx4 v[116:119], v[118:119], off offset:1200
	v_lshl_add_u32 v126, v135, 4, 0
	s_waitcnt vmcnt(29)
	ds_write_b128 v123, v[0:3]
	s_waitcnt vmcnt(28)
	ds_write_b128 v123, v[4:7] offset:2160
	s_waitcnt vmcnt(27)
	ds_write_b128 v123, v[8:11] offset:4320
	s_waitcnt vmcnt(26)
	ds_write_b128 v126, v[12:15]
	s_waitcnt vmcnt(23)
	ds_write_b128 v123, v[24:27] offset:17280
	v_add_u32_e32 v126, 0x87, v122
	v_add_u32_e32 v142, 0x10e, v122
	;; [unrolled: 1-line block ×7, first 2 shown]
	v_mov_b32_e32 v140, v135
	v_lshl_add_u32 v0, v134, 4, 0
	s_waitcnt vmcnt(22)
	ds_write_b128 v123, v[28:31] offset:19440
	s_waitcnt vmcnt(21)
	ds_write_b128 v123, v[32:35] offset:21600
	;; [unrolled: 2-line block ×3, first 2 shown]
	s_waitcnt vmcnt(19)
	ds_write_b128 v0, v[40:43]
	s_waitcnt vmcnt(18)
	ds_write_b128 v123, v[44:47] offset:10800
	ds_write_b128 v123, v[16:19] offset:12960
	;; [unrolled: 1-line block ×3, first 2 shown]
	s_waitcnt vmcnt(17)
	ds_write_b128 v123, v[48:51] offset:25920
	s_waitcnt vmcnt(16)
	ds_write_b128 v123, v[52:55] offset:28080
	;; [unrolled: 2-line block ×18, first 2 shown]
.LBB0_13:
	s_or_b64 exec, exec, s[10:11]
	v_lshlrev_b32_e32 v123, 4, v122
	v_add_u32_e32 v160, 0, v123
	s_load_dwordx2 s[2:3], s[2:3], 0x0
	s_waitcnt lgkmcnt(0)
	s_barrier
	ds_read_b128 v[52:55], v160
	ds_read_b128 v[20:23], v160 offset:2160
	ds_read_b128 v[88:91], v160 offset:12960
	;; [unrolled: 1-line block ×25, first 2 shown]
	s_waitcnt lgkmcnt(14)
	v_add_f64 v[106:107], v[92:93], v[96:97]
	s_mov_b32 s4, 0x134454ff
	v_fma_f64 v[106:107], -0.5, v[106:107], v[52:53]
	v_add_f64 v[112:113], v[90:91], -v[102:103]
	s_mov_b32 s5, 0x3fee6f0e
	s_mov_b32 s10, 0x4755a5e
	;; [unrolled: 1-line block ×4, first 2 shown]
	v_fma_f64 v[108:109], s[4:5], v[112:113], v[106:107]
	v_add_f64 v[114:115], v[94:95], -v[98:99]
	s_mov_b32 s11, 0x3fe2cf23
	v_add_f64 v[110:111], v[88:89], -v[92:93]
	v_add_f64 v[116:117], v[100:101], -v[96:97]
	s_mov_b32 s12, 0x372fe950
	v_fmac_f64_e32 v[106:107], s[14:15], v[112:113]
	s_mov_b32 s17, 0xbfe2cf23
	s_mov_b32 s16, s10
	v_fmac_f64_e32 v[108:109], s[10:11], v[114:115]
	v_add_f64 v[110:111], v[110:111], v[116:117]
	s_mov_b32 s13, 0x3fd3c6ef
	v_fmac_f64_e32 v[106:107], s[16:17], v[114:115]
	v_fmac_f64_e32 v[108:109], s[12:13], v[110:111]
	;; [unrolled: 1-line block ×3, first 2 shown]
	v_add_f64 v[110:111], v[88:89], v[100:101]
	v_add_f64 v[104:105], v[52:53], v[88:89]
	v_fmac_f64_e32 v[52:53], -0.5, v[110:111]
	v_fma_f64 v[110:111], s[14:15], v[114:115], v[52:53]
	v_fmac_f64_e32 v[52:53], s[4:5], v[114:115]
	v_fmac_f64_e32 v[110:111], s[10:11], v[112:113]
	;; [unrolled: 1-line block ×3, first 2 shown]
	v_add_f64 v[112:113], v[54:55], v[90:91]
	v_add_f64 v[112:113], v[112:113], v[94:95]
	v_add_f64 v[116:117], v[92:93], -v[88:89]
	v_add_f64 v[118:119], v[96:97], -v[100:101]
	v_add_f64 v[112:113], v[112:113], v[98:99]
	v_add_f64 v[104:105], v[104:105], v[92:93]
	v_add_f64 v[116:117], v[116:117], v[118:119]
	v_add_f64 v[118:119], v[112:113], v[102:103]
	v_add_f64 v[112:113], v[94:95], v[98:99]
	v_add_f64 v[104:105], v[104:105], v[96:97]
	v_fmac_f64_e32 v[110:111], s[12:13], v[116:117]
	v_fmac_f64_e32 v[52:53], s[12:13], v[116:117]
	v_fma_f64 v[116:117], -0.5, v[112:113], v[54:55]
	v_add_f64 v[88:89], v[88:89], -v[100:101]
	v_add_f64 v[104:105], v[104:105], v[100:101]
	v_fma_f64 v[144:145], s[14:15], v[88:89], v[116:117]
	v_add_f64 v[92:93], v[92:93], -v[96:97]
	v_add_f64 v[96:97], v[90:91], -v[94:95]
	;; [unrolled: 1-line block ×3, first 2 shown]
	v_fmac_f64_e32 v[116:117], s[4:5], v[88:89]
	v_fmac_f64_e32 v[144:145], s[16:17], v[92:93]
	v_add_f64 v[96:97], v[96:97], v[100:101]
	v_fmac_f64_e32 v[116:117], s[10:11], v[92:93]
	v_fmac_f64_e32 v[144:145], s[12:13], v[96:97]
	;; [unrolled: 1-line block ×3, first 2 shown]
	v_add_f64 v[96:97], v[90:91], v[102:103]
	v_fmac_f64_e32 v[54:55], -0.5, v[96:97]
	v_fma_f64 v[146:147], s[4:5], v[92:93], v[54:55]
	v_add_f64 v[90:91], v[94:95], -v[90:91]
	v_add_f64 v[94:95], v[98:99], -v[102:103]
	v_fmac_f64_e32 v[54:55], s[14:15], v[92:93]
	v_fmac_f64_e32 v[146:147], s[16:17], v[88:89]
	v_add_f64 v[90:91], v[90:91], v[94:95]
	v_fmac_f64_e32 v[54:55], s[10:11], v[88:89]
	v_fmac_f64_e32 v[146:147], s[12:13], v[90:91]
	;; [unrolled: 1-line block ×3, first 2 shown]
	ds_read_b128 v[88:91], v160 offset:58320
	ds_read_b128 v[112:115], v160 offset:56160
	s_waitcnt lgkmcnt(13)
	v_add_f64 v[92:93], v[72:73], v[76:77]
	s_waitcnt lgkmcnt(9)
	v_add_f64 v[92:93], v[92:93], v[80:81]
	;; [unrolled: 2-line block ×4, first 2 shown]
	v_add_f64 v[92:93], v[80:81], v[84:85]
	v_fma_f64 v[94:95], -0.5, v[92:93], v[72:73]
	v_add_f64 v[92:93], v[78:79], -v[90:91]
	v_fma_f64 v[98:99], s[4:5], v[92:93], v[94:95]
	v_add_f64 v[96:97], v[82:83], -v[86:87]
	v_add_f64 v[100:101], v[76:77], -v[80:81]
	;; [unrolled: 1-line block ×3, first 2 shown]
	v_fmac_f64_e32 v[94:95], s[14:15], v[92:93]
	v_fmac_f64_e32 v[98:99], s[10:11], v[96:97]
	v_add_f64 v[100:101], v[100:101], v[102:103]
	v_fmac_f64_e32 v[94:95], s[16:17], v[96:97]
	v_fmac_f64_e32 v[98:99], s[12:13], v[100:101]
	;; [unrolled: 1-line block ×3, first 2 shown]
	v_add_f64 v[100:101], v[76:77], v[88:89]
	v_fmac_f64_e32 v[72:73], -0.5, v[100:101]
	v_fma_f64 v[102:103], s[14:15], v[96:97], v[72:73]
	v_fmac_f64_e32 v[72:73], s[4:5], v[96:97]
	v_fmac_f64_e32 v[102:103], s[10:11], v[92:93]
	;; [unrolled: 1-line block ×3, first 2 shown]
	v_add_f64 v[92:93], v[74:75], v[78:79]
	v_add_f64 v[92:93], v[92:93], v[82:83]
	v_add_f64 v[100:101], v[80:81], -v[76:77]
	v_add_f64 v[150:151], v[84:85], -v[88:89]
	v_add_f64 v[92:93], v[92:93], v[86:87]
	v_add_f64 v[100:101], v[100:101], v[150:151]
	;; [unrolled: 1-line block ×4, first 2 shown]
	v_fma_f64 v[152:153], -0.5, v[92:93], v[74:75]
	v_add_f64 v[76:77], v[76:77], -v[88:89]
	v_fma_f64 v[88:89], s[14:15], v[76:77], v[152:153]
	v_add_f64 v[80:81], v[80:81], -v[84:85]
	v_add_f64 v[84:85], v[78:79], -v[82:83]
	;; [unrolled: 1-line block ×3, first 2 shown]
	v_fmac_f64_e32 v[152:153], s[4:5], v[76:77]
	v_fmac_f64_e32 v[88:89], s[16:17], v[80:81]
	v_add_f64 v[84:85], v[84:85], v[92:93]
	v_fmac_f64_e32 v[152:153], s[10:11], v[80:81]
	v_fmac_f64_e32 v[88:89], s[12:13], v[84:85]
	;; [unrolled: 1-line block ×3, first 2 shown]
	v_add_f64 v[84:85], v[78:79], v[90:91]
	v_fmac_f64_e32 v[74:75], -0.5, v[84:85]
	v_fma_f64 v[92:93], s[4:5], v[80:81], v[74:75]
	v_add_f64 v[78:79], v[82:83], -v[78:79]
	v_add_f64 v[82:83], v[86:87], -v[90:91]
	v_fmac_f64_e32 v[92:93], s[16:17], v[76:77]
	v_add_f64 v[78:79], v[78:79], v[82:83]
	v_fmac_f64_e32 v[74:75], s[14:15], v[80:81]
	s_mov_b32 s18, 0x9b97f4a8
	v_fmac_f64_e32 v[72:73], s[12:13], v[100:101]
	v_fmac_f64_e32 v[92:93], s[12:13], v[78:79]
	;; [unrolled: 1-line block ×3, first 2 shown]
	s_mov_b32 s19, 0x3fe9e377
	v_fmac_f64_e32 v[102:103], s[12:13], v[100:101]
	v_fmac_f64_e32 v[74:75], s[12:13], v[78:79]
	v_mul_f64 v[76:77], v[98:99], s[18:19]
	v_mul_f64 v[78:79], v[92:93], s[4:5]
	;; [unrolled: 1-line block ×3, first 2 shown]
	v_fmac_f64_e32 v[76:77], s[10:11], v[88:89]
	v_fmac_f64_e32 v[78:79], s[12:13], v[102:103]
	v_fma_f64 v[90:91], v[74:75], s[4:5], -v[80:81]
	v_mul_f64 v[154:155], v[98:99], s[16:17]
	v_mul_f64 v[74:75], v[74:75], s[12:13]
	v_add_f64 v[96:97], v[108:109], v[76:77]
	v_add_f64 v[84:85], v[110:111], v[78:79]
	v_fmac_f64_e32 v[154:155], s[18:19], v[88:89]
	v_mul_f64 v[82:83], v[94:95], s[18:19]
	v_mul_f64 v[158:159], v[102:103], s[14:15]
	v_fma_f64 v[74:75], v[72:73], s[14:15], -v[74:75]
	v_mul_f64 v[72:73], v[152:153], s[18:19]
	v_add_f64 v[88:89], v[108:109], -v[76:77]
	v_add_f64 v[76:77], v[110:111], -v[78:79]
	v_add_f64 v[110:111], v[60:61], v[64:65]
	v_add_f64 v[80:81], v[52:53], v[90:91]
	v_fma_f64 v[156:157], v[152:153], s[10:11], -v[82:83]
	v_fmac_f64_e32 v[158:159], s[12:13], v[92:93]
	v_add_f64 v[98:99], v[144:145], v[154:155]
	v_fma_f64 v[152:153], v[94:95], s[16:17], -v[72:73]
	v_add_f64 v[72:73], v[52:53], -v[90:91]
	v_add_f64 v[90:91], v[144:145], -v[154:155]
	v_fma_f64 v[144:145], -0.5, v[110:111], v[20:21]
	v_add_f64 v[110:111], v[58:59], -v[70:71]
	v_add_f64 v[100:101], v[104:105], v[148:149]
	v_add_f64 v[92:93], v[106:107], v[156:157]
	;; [unrolled: 1-line block ×6, first 2 shown]
	v_add_f64 v[104:105], v[104:105], -v[148:149]
	v_add_f64 v[52:53], v[106:107], -v[156:157]
	;; [unrolled: 1-line block ×6, first 2 shown]
	v_fma_f64 v[146:147], s[4:5], v[110:111], v[144:145]
	v_add_f64 v[116:117], v[62:63], -v[66:67]
	v_add_f64 v[118:119], v[56:57], -v[60:61]
	;; [unrolled: 1-line block ×3, first 2 shown]
	v_fmac_f64_e32 v[144:145], s[14:15], v[110:111]
	v_fmac_f64_e32 v[146:147], s[10:11], v[116:117]
	v_add_f64 v[118:119], v[118:119], v[148:149]
	v_fmac_f64_e32 v[144:145], s[16:17], v[116:117]
	v_fmac_f64_e32 v[146:147], s[12:13], v[118:119]
	;; [unrolled: 1-line block ×3, first 2 shown]
	v_add_f64 v[118:119], v[56:57], v[68:69]
	v_add_f64 v[108:109], v[20:21], v[56:57]
	v_fmac_f64_e32 v[20:21], -0.5, v[118:119]
	v_add_f64 v[108:109], v[108:109], v[60:61]
	v_fma_f64 v[148:149], s[14:15], v[116:117], v[20:21]
	v_add_f64 v[118:119], v[60:61], -v[56:57]
	v_add_f64 v[150:151], v[64:65], -v[68:69]
	v_fmac_f64_e32 v[20:21], s[4:5], v[116:117]
	v_add_f64 v[116:117], v[62:63], v[66:67]
	v_add_f64 v[108:109], v[108:109], v[64:65]
	;; [unrolled: 1-line block ×3, first 2 shown]
	v_fma_f64 v[150:151], -0.5, v[116:117], v[22:23]
	v_add_f64 v[56:57], v[56:57], -v[68:69]
	v_add_f64 v[108:109], v[108:109], v[68:69]
	v_fma_f64 v[152:153], s[14:15], v[56:57], v[150:151]
	v_add_f64 v[60:61], v[60:61], -v[64:65]
	v_add_f64 v[64:65], v[58:59], -v[62:63]
	;; [unrolled: 1-line block ×3, first 2 shown]
	v_fmac_f64_e32 v[150:151], s[4:5], v[56:57]
	v_fmac_f64_e32 v[152:153], s[16:17], v[60:61]
	v_add_f64 v[64:65], v[64:65], v[68:69]
	v_fmac_f64_e32 v[150:151], s[10:11], v[60:61]
	v_fmac_f64_e32 v[152:153], s[12:13], v[64:65]
	;; [unrolled: 1-line block ×3, first 2 shown]
	v_add_f64 v[64:65], v[58:59], v[70:71]
	v_fmac_f64_e32 v[148:149], s[10:11], v[110:111]
	v_fmac_f64_e32 v[20:21], s[16:17], v[110:111]
	v_add_f64 v[110:111], v[22:23], v[58:59]
	v_fmac_f64_e32 v[22:23], -0.5, v[64:65]
	v_add_f64 v[110:111], v[110:111], v[62:63]
	v_fma_f64 v[154:155], s[4:5], v[60:61], v[22:23]
	v_add_f64 v[58:59], v[62:63], -v[58:59]
	v_add_f64 v[62:63], v[66:67], -v[70:71]
	v_fmac_f64_e32 v[22:23], s[14:15], v[60:61]
	v_fmac_f64_e32 v[154:155], s[16:17], v[56:57]
	v_add_f64 v[58:59], v[58:59], v[62:63]
	v_fmac_f64_e32 v[22:23], s[10:11], v[56:57]
	v_fmac_f64_e32 v[154:155], s[12:13], v[58:59]
	v_fmac_f64_e32 v[22:23], s[12:13], v[58:59]
	ds_read_b128 v[56:59], v160 offset:60480
	v_add_f64 v[62:63], v[44:45], v[48:49]
	v_fmac_f64_e32 v[148:149], s[12:13], v[118:119]
	v_fmac_f64_e32 v[20:21], s[12:13], v[118:119]
	ds_read_b128 v[116:119], v160 offset:62640
	v_add_f64 v[110:111], v[110:111], v[66:67]
	v_fma_f64 v[156:157], -0.5, v[62:63], v[36:37]
	s_waitcnt lgkmcnt(1)
	v_add_f64 v[62:63], v[42:43], -v[58:59]
	v_add_f64 v[110:111], v[110:111], v[70:71]
	v_fma_f64 v[66:67], s[4:5], v[62:63], v[156:157]
	v_add_f64 v[64:65], v[46:47], -v[50:51]
	v_add_f64 v[68:69], v[40:41], -v[44:45]
	;; [unrolled: 1-line block ×3, first 2 shown]
	v_fmac_f64_e32 v[156:157], s[14:15], v[62:63]
	v_fmac_f64_e32 v[66:67], s[10:11], v[64:65]
	v_add_f64 v[68:69], v[68:69], v[70:71]
	v_fmac_f64_e32 v[156:157], s[16:17], v[64:65]
	v_fmac_f64_e32 v[66:67], s[12:13], v[68:69]
	;; [unrolled: 1-line block ×3, first 2 shown]
	v_add_f64 v[68:69], v[40:41], v[56:57]
	v_add_f64 v[60:61], v[36:37], v[40:41]
	v_fmac_f64_e32 v[36:37], -0.5, v[68:69]
	v_fma_f64 v[70:71], s[14:15], v[64:65], v[36:37]
	v_add_f64 v[68:69], v[44:45], -v[40:41]
	v_add_f64 v[158:159], v[48:49], -v[56:57]
	v_fmac_f64_e32 v[36:37], s[4:5], v[64:65]
	v_add_f64 v[64:65], v[46:47], v[50:51]
	v_fmac_f64_e32 v[70:71], s[10:11], v[62:63]
	v_add_f64 v[68:69], v[68:69], v[158:159]
	v_fmac_f64_e32 v[36:37], s[16:17], v[62:63]
	v_fma_f64 v[158:159], -0.5, v[64:65], v[38:39]
	v_add_f64 v[40:41], v[40:41], -v[56:57]
	v_fmac_f64_e32 v[70:71], s[12:13], v[68:69]
	v_fmac_f64_e32 v[36:37], s[12:13], v[68:69]
	v_fma_f64 v[162:163], s[14:15], v[40:41], v[158:159]
	v_add_f64 v[64:65], v[44:45], -v[48:49]
	v_add_f64 v[68:69], v[42:43], -v[46:47]
	;; [unrolled: 1-line block ×3, first 2 shown]
	v_fmac_f64_e32 v[158:159], s[4:5], v[40:41]
	v_add_f64 v[62:63], v[38:39], v[42:43]
	v_fmac_f64_e32 v[162:163], s[16:17], v[64:65]
	v_add_f64 v[68:69], v[68:69], v[164:165]
	v_fmac_f64_e32 v[158:159], s[10:11], v[64:65]
	v_add_f64 v[44:45], v[60:61], v[44:45]
	v_fmac_f64_e32 v[162:163], s[12:13], v[68:69]
	v_fmac_f64_e32 v[158:159], s[12:13], v[68:69]
	v_add_f64 v[68:69], v[42:43], v[58:59]
	v_add_f64 v[44:45], v[44:45], v[48:49]
	;; [unrolled: 1-line block ×3, first 2 shown]
	v_fmac_f64_e32 v[38:39], -0.5, v[68:69]
	v_add_f64 v[48:49], v[48:49], v[50:51]
	v_add_f64 v[44:45], v[44:45], v[56:57]
	;; [unrolled: 1-line block ×3, first 2 shown]
	v_add_f64 v[42:43], v[46:47], -v[42:43]
	v_fma_f64 v[46:47], s[4:5], v[64:65], v[38:39]
	v_add_f64 v[48:49], v[50:51], -v[58:59]
	v_fmac_f64_e32 v[38:39], s[14:15], v[64:65]
	v_add_f64 v[42:43], v[42:43], v[48:49]
	v_fmac_f64_e32 v[38:39], s[10:11], v[40:41]
	v_fmac_f64_e32 v[38:39], s[12:13], v[42:43]
	v_mul_f64 v[50:51], v[36:37], s[12:13]
	v_fma_f64 v[58:59], v[38:39], s[4:5], -v[50:51]
	v_mul_f64 v[38:39], v[38:39], s[12:13]
	v_fma_f64 v[38:39], v[36:37], s[14:15], -v[38:39]
	v_mul_f64 v[36:37], v[156:157], s[18:19]
	v_fmac_f64_e32 v[46:47], s[16:17], v[40:41]
	v_mul_f64 v[164:165], v[66:67], s[16:17]
	v_fma_f64 v[166:167], v[158:159], s[10:11], -v[36:37]
	v_mul_f64 v[36:37], v[158:159], s[18:19]
	v_fmac_f64_e32 v[46:47], s[12:13], v[42:43]
	v_add_f64 v[68:69], v[108:109], v[44:45]
	v_mul_f64 v[40:41], v[66:67], s[18:19]
	v_fmac_f64_e32 v[164:165], s[18:19], v[162:163]
	v_add_f64 v[60:61], v[20:21], v[58:59]
	v_add_f64 v[44:45], v[108:109], -v[44:45]
	v_add_f64 v[108:109], v[144:145], v[166:167]
	v_fma_f64 v[156:157], v[156:157], s[16:17], -v[36:37]
	v_add_f64 v[36:37], v[20:21], -v[58:59]
	v_add_f64 v[20:21], v[144:145], -v[166:167]
	v_add_f64 v[144:145], v[0:1], v[24:25]
	v_fmac_f64_e32 v[40:41], s[10:11], v[162:163]
	v_mul_f64 v[42:43], v[46:47], s[4:5]
	v_mul_f64 v[162:163], v[70:71], s[14:15]
	v_add_f64 v[66:67], v[152:153], v[164:165]
	v_add_f64 v[58:59], v[152:153], -v[164:165]
	v_add_f64 v[152:153], v[144:145], v[28:29]
	v_add_f64 v[144:145], v[28:29], v[32:33]
	;; [unrolled: 1-line block ×3, first 2 shown]
	v_fmac_f64_e32 v[42:43], s[12:13], v[70:71]
	v_fmac_f64_e32 v[162:163], s[12:13], v[46:47]
	v_add_f64 v[70:71], v[110:111], v[56:57]
	v_add_f64 v[46:47], v[110:111], -v[56:57]
	v_add_f64 v[56:57], v[146:147], -v[40:41]
	v_fma_f64 v[144:145], -0.5, v[144:145], v[0:1]
	v_add_f64 v[146:147], v[26:27], -v[114:115]
	v_add_f64 v[48:49], v[148:149], v[42:43]
	v_add_f64 v[50:51], v[154:155], v[162:163]
	;; [unrolled: 1-line block ×4, first 2 shown]
	v_add_f64 v[40:41], v[148:149], -v[42:43]
	v_add_f64 v[42:43], v[154:155], -v[162:163]
	v_add_f64 v[38:39], v[22:23], -v[38:39]
	v_add_f64 v[22:23], v[150:151], -v[156:157]
	v_fma_f64 v[148:149], s[4:5], v[146:147], v[144:145]
	v_add_f64 v[154:155], v[30:31], -v[34:35]
	v_add_f64 v[150:151], v[24:25], -v[28:29]
	;; [unrolled: 1-line block ×3, first 2 shown]
	v_fmac_f64_e32 v[144:145], s[14:15], v[146:147]
	v_fmac_f64_e32 v[148:149], s[10:11], v[154:155]
	v_add_f64 v[150:151], v[150:151], v[156:157]
	v_fmac_f64_e32 v[144:145], s[16:17], v[154:155]
	v_fmac_f64_e32 v[148:149], s[12:13], v[150:151]
	;; [unrolled: 1-line block ×3, first 2 shown]
	v_add_f64 v[150:151], v[24:25], v[112:113]
	v_fmac_f64_e32 v[0:1], -0.5, v[150:151]
	v_fma_f64 v[150:151], s[14:15], v[154:155], v[0:1]
	v_add_f64 v[156:157], v[28:29], -v[24:25]
	v_add_f64 v[158:159], v[32:33], -v[112:113]
	v_fmac_f64_e32 v[0:1], s[4:5], v[154:155]
	v_fmac_f64_e32 v[150:151], s[10:11], v[146:147]
	v_add_f64 v[156:157], v[156:157], v[158:159]
	v_fmac_f64_e32 v[0:1], s[16:17], v[146:147]
	v_add_f64 v[146:147], v[30:31], v[34:35]
	v_fmac_f64_e32 v[150:151], s[12:13], v[156:157]
	v_fmac_f64_e32 v[0:1], s[12:13], v[156:157]
	v_fma_f64 v[146:147], -0.5, v[146:147], v[2:3]
	v_add_f64 v[154:155], v[24:25], -v[112:113]
	v_add_f64 v[156:157], v[26:27], -v[30:31]
	;; [unrolled: 1-line block ×3, first 2 shown]
	v_fma_f64 v[24:25], s[14:15], v[154:155], v[146:147]
	v_add_f64 v[156:157], v[156:157], v[158:159]
	v_add_f64 v[158:159], v[28:29], -v[32:33]
	v_fmac_f64_e32 v[146:147], s[4:5], v[154:155]
	v_fmac_f64_e32 v[24:25], s[16:17], v[158:159]
	;; [unrolled: 1-line block ×5, first 2 shown]
	v_add_f64 v[28:29], v[2:3], v[26:27]
	v_add_f64 v[156:157], v[30:31], -v[26:27]
	v_add_f64 v[26:27], v[26:27], v[114:115]
	v_fmac_f64_e32 v[2:3], -0.5, v[26:27]
	v_add_f64 v[28:29], v[28:29], v[30:31]
	v_add_f64 v[30:31], v[152:153], v[32:33]
	v_fma_f64 v[26:27], s[4:5], v[158:159], v[2:3]
	v_add_f64 v[32:33], v[34:35], -v[114:115]
	v_fmac_f64_e32 v[2:3], s[14:15], v[158:159]
	v_fmac_f64_e32 v[26:27], s[16:17], v[154:155]
	v_add_f64 v[32:33], v[156:157], v[32:33]
	v_fmac_f64_e32 v[2:3], s[10:11], v[154:155]
	v_fmac_f64_e32 v[26:27], s[12:13], v[32:33]
	;; [unrolled: 1-line block ×3, first 2 shown]
	v_add_f64 v[32:33], v[12:13], v[16:17]
	v_add_f64 v[30:31], v[30:31], v[112:113]
	;; [unrolled: 1-line block ×3, first 2 shown]
	v_fma_f64 v[32:33], -0.5, v[32:33], v[4:5]
	s_waitcnt lgkmcnt(0)
	v_add_f64 v[112:113], v[10:11], -v[118:119]
	v_add_f64 v[28:29], v[28:29], v[114:115]
	v_fma_f64 v[114:115], s[4:5], v[112:113], v[32:33]
	v_add_f64 v[152:153], v[14:15], -v[18:19]
	v_add_f64 v[154:155], v[8:9], -v[12:13]
	v_add_f64 v[156:157], v[116:117], -v[16:17]
	v_fmac_f64_e32 v[32:33], s[14:15], v[112:113]
	v_fmac_f64_e32 v[114:115], s[10:11], v[152:153]
	v_add_f64 v[154:155], v[154:155], v[156:157]
	v_fmac_f64_e32 v[32:33], s[16:17], v[152:153]
	v_fmac_f64_e32 v[114:115], s[12:13], v[154:155]
	;; [unrolled: 1-line block ×3, first 2 shown]
	v_add_f64 v[154:155], v[8:9], v[116:117]
	v_add_f64 v[34:35], v[4:5], v[8:9]
	v_fmac_f64_e32 v[4:5], -0.5, v[154:155]
	v_add_f64 v[154:155], v[12:13], -v[8:9]
	v_add_f64 v[156:157], v[16:17], -v[116:117]
	v_add_f64 v[154:155], v[154:155], v[156:157]
	v_fma_f64 v[156:157], s[14:15], v[152:153], v[4:5]
	v_fmac_f64_e32 v[4:5], s[4:5], v[152:153]
	v_fmac_f64_e32 v[156:157], s[10:11], v[112:113]
	;; [unrolled: 1-line block ×3, first 2 shown]
	v_add_f64 v[112:113], v[14:15], v[18:19]
	v_add_f64 v[158:159], v[12:13], -v[16:17]
	v_add_f64 v[12:13], v[34:35], v[12:13]
	v_add_f64 v[34:35], v[6:7], v[10:11]
	v_fma_f64 v[152:153], -0.5, v[112:113], v[6:7]
	v_add_f64 v[112:113], v[10:11], -v[14:15]
	v_add_f64 v[34:35], v[34:35], v[14:15]
	v_add_f64 v[14:15], v[14:15], -v[10:11]
	v_add_f64 v[10:11], v[10:11], v[118:119]
	v_add_f64 v[12:13], v[12:13], v[16:17]
	;; [unrolled: 1-line block ×4, first 2 shown]
	v_fmac_f64_e32 v[6:7], -0.5, v[10:11]
	v_fmac_f64_e32 v[156:157], s[12:13], v[154:155]
	v_fmac_f64_e32 v[4:5], s[12:13], v[154:155]
	v_add_f64 v[154:155], v[118:119], -v[18:19]
	v_add_f64 v[8:9], v[8:9], -v[116:117]
	v_add_f64 v[34:35], v[12:13], v[118:119]
	v_fma_f64 v[10:11], s[4:5], v[158:159], v[6:7]
	v_add_f64 v[12:13], v[18:19], -v[118:119]
	v_fmac_f64_e32 v[6:7], s[14:15], v[158:159]
	v_add_f64 v[112:113], v[112:113], v[154:155]
	v_fma_f64 v[154:155], s[14:15], v[8:9], v[152:153]
	v_add_f64 v[12:13], v[14:15], v[12:13]
	v_fmac_f64_e32 v[6:7], s[10:11], v[8:9]
	v_mul_u32_u24_e32 v127, 10, v122
	v_fmac_f64_e32 v[154:155], s[16:17], v[158:159]
	v_fmac_f64_e32 v[152:153], s[4:5], v[8:9]
	;; [unrolled: 1-line block ×4, first 2 shown]
	v_mul_f64 v[14:15], v[4:5], s[12:13]
	v_lshl_add_u32 v127, v127, 4, 0
	v_fmac_f64_e32 v[154:155], s[12:13], v[112:113]
	v_fmac_f64_e32 v[152:153], s[10:11], v[158:159]
	;; [unrolled: 1-line block ×3, first 2 shown]
	v_mul_f64 v[116:117], v[114:115], s[18:19]
	v_fma_f64 v[162:163], v[6:7], s[4:5], -v[14:15]
	v_mul_f64 v[114:115], v[114:115], s[16:17]
	v_mul_f64 v[6:7], v[6:7], s[12:13]
	s_barrier
	ds_write_b128 v127, v[100:103]
	ds_write_b128 v127, v[96:99] offset:16
	ds_write_b128 v127, v[84:87] offset:32
	;; [unrolled: 1-line block ×9, first 2 shown]
	v_mul_i32_i24_e32 v52, 10, v126
	v_fmac_f64_e32 v[152:153], s[12:13], v[112:113]
	v_fmac_f64_e32 v[116:117], s[10:11], v[154:155]
	v_mul_f64 v[158:159], v[10:11], s[4:5]
	v_fmac_f64_e32 v[114:115], s[18:19], v[154:155]
	v_fma_f64 v[154:155], v[4:5], s[14:15], -v[6:7]
	v_add_f64 v[14:15], v[28:29], v[34:35]
	v_add_f64 v[18:19], v[28:29], -v[34:35]
	v_mul_f64 v[34:35], v[156:157], s[14:15]
	v_mul_f64 v[6:7], v[32:33], s[18:19]
	v_lshl_add_u32 v129, v52, 4, 0
	v_add_f64 v[12:13], v[30:31], v[16:17]
	v_fmac_f64_e32 v[158:159], s[12:13], v[156:157]
	v_add_f64 v[16:17], v[30:31], -v[16:17]
	v_fmac_f64_e32 v[34:35], s[12:13], v[10:11]
	v_fma_f64 v[156:157], v[152:153], s[10:11], -v[6:7]
	v_add_f64 v[10:11], v[24:25], v[114:115]
	v_add_f64 v[30:31], v[24:25], -v[114:115]
	v_mul_f64 v[24:25], v[152:153], s[18:19]
	ds_write_b128 v129, v[68:71]
	ds_write_b128 v129, v[64:67] offset:16
	ds_write_b128 v129, v[48:51] offset:32
	;; [unrolled: 1-line block ×9, first 2 shown]
	v_mul_i32_i24_e32 v20, 10, v142
	v_add_f64 v[8:9], v[148:149], v[116:117]
	v_add_f64 v[112:113], v[0:1], v[162:163]
	v_add_f64 v[28:29], v[148:149], -v[116:117]
	v_fma_f64 v[148:149], v[32:33], s[16:17], -v[24:25]
	v_add_f64 v[24:25], v[0:1], -v[162:163]
	v_add_f64 v[0:1], v[144:145], -v[156:157]
	v_lshl_add_u32 v131, v20, 4, 0
	s_movk_i32 s18, 0xcd
	v_add_f64 v[4:5], v[150:151], v[158:159]
	v_add_f64 v[116:117], v[144:145], v[156:157]
	;; [unrolled: 1-line block ×5, first 2 shown]
	v_add_f64 v[32:33], v[150:151], -v[158:159]
	v_add_f64 v[34:35], v[26:27], -v[34:35]
	v_add_f64 v[26:27], v[2:3], -v[154:155]
	v_add_f64 v[2:3], v[146:147], -v[148:149]
	ds_write_b128 v131, v[12:15]
	ds_write_b128 v131, v[8:11] offset:16
	ds_write_b128 v131, v[4:7] offset:32
	;; [unrolled: 1-line block ×9, first 2 shown]
	v_mul_lo_u16_sdwa v0, v122, s18 dst_sel:DWORD dst_unused:UNUSED_PAD src0_sel:BYTE_0 src1_sel:DWORD
	v_lshrrev_b16_e32 v139, 11, v0
	v_mul_lo_u16_e32 v0, 10, v139
	v_sub_u16_e32 v162, v122, v0
	v_mov_b32_e32 v0, 6
	v_lshlrev_b32_sdwa v0, v0, v162 dst_sel:DWORD dst_unused:UNUSED_PAD src0_sel:DWORD src1_sel:BYTE_0
	s_waitcnt lgkmcnt(0)
	s_barrier
	global_load_dwordx4 v[20:23], v0, s[8:9]
	global_load_dwordx4 v[16:19], v0, s[8:9] offset:16
	global_load_dwordx4 v[12:15], v0, s[8:9] offset:32
	;; [unrolled: 1-line block ×3, first 2 shown]
	s_mov_b32 s18, 0xcccd
	v_mul_u32_u24_sdwa v0, v126, s18 dst_sel:DWORD dst_unused:UNUSED_PAD src0_sel:WORD_0 src1_sel:DWORD
	v_lshrrev_b32_e32 v166, 19, v0
	v_mul_lo_u16_e32 v0, 10, v166
	v_sub_u16_e32 v167, v126, v0
	v_lshlrev_b32_e32 v0, 6, v167
	global_load_dwordx4 v[36:39], v0, s[8:9]
	global_load_dwordx4 v[32:35], v0, s[8:9] offset:16
	global_load_dwordx4 v[28:31], v0, s[8:9] offset:32
	;; [unrolled: 1-line block ×3, first 2 shown]
	v_mul_u32_u24_sdwa v0, v142, s18 dst_sel:DWORD dst_unused:UNUSED_PAD src0_sel:WORD_0 src1_sel:DWORD
	v_lshrrev_b32_e32 v141, 19, v0
	v_mul_lo_u16_e32 v0, 10, v141
	v_sub_u16_e32 v143, v142, v0
	v_lshlrev_b32_e32 v4, 6, v143
	global_load_dwordx4 v[48:51], v4, s[8:9]
	global_load_dwordx4 v[44:47], v4, s[8:9] offset:16
	v_lshl_add_u32 v161, v136, 4, 0
	ds_read_b128 v[60:63], v161
	ds_read_b128 v[0:3], v160
	ds_read_b128 v[56:59], v160 offset:15120
	global_load_dwordx4 v[52:55], v4, s[8:9] offset:32
	global_load_dwordx4 v[40:43], v4, s[8:9] offset:48
	v_mul_u32_u24_sdwa v4, v135, s18 dst_sel:DWORD dst_unused:UNUSED_PAD src0_sel:WORD_0 src1_sel:DWORD
	v_lshrrev_b32_e32 v164, 19, v4
	v_mul_lo_u16_e32 v4, 10, v164
	v_sub_u16_e32 v165, v135, v4
	v_lshlrev_b32_e32 v102, 6, v165
	ds_read_b128 v[88:91], v160 offset:25920
	ds_read_b128 v[84:87], v160 offset:28080
	;; [unrolled: 1-line block ×6, first 2 shown]
	global_load_dwordx4 v[68:71], v102, s[8:9]
	global_load_dwordx4 v[64:67], v102, s[8:9] offset:16
	global_load_dwordx4 v[112:115], v102, s[8:9] offset:32
	ds_read_b128 v[72:75], v160 offset:17280
	ds_read_b128 v[180:183], v160 offset:62640
	v_lshl_add_u32 v133, v140, 4, 0
	ds_read_b128 v[4:7], v133
	s_movk_i32 s19, 0xff70
	v_mad_i32_i24 v127, v126, s19, v129
	v_lshl_add_u32 v163, v134, 4, 0
	v_mad_i32_i24 v137, v142, s19, v131
	v_cmp_gt_u32_e32 vcc, 15, v122
	s_waitcnt vmcnt(14) lgkmcnt(11)
	v_mul_f64 v[100:101], v[62:63], v[22:23]
	v_fma_f64 v[104:105], v[60:61], v[20:21], -v[100:101]
	v_mul_f64 v[106:107], v[60:61], v[22:23]
	v_mul_u32_u24_sdwa v60, v134, s18 dst_sel:DWORD dst_unused:UNUSED_PAD src0_sel:WORD_0 src1_sel:DWORD
	v_lshrrev_b32_e32 v170, 19, v60
	v_fmac_f64_e32 v[106:107], v[62:63], v[20:21]
	s_waitcnt vmcnt(13) lgkmcnt(8)
	v_mul_f64 v[20:21], v[90:91], v[18:19]
	v_mul_lo_u16_e32 v60, 10, v170
	v_fma_f64 v[108:109], v[88:89], v[16:17], -v[20:21]
	v_sub_u16_e32 v171, v134, v60
	v_mul_f64 v[88:89], v[88:89], v[18:19]
	v_lshlrev_b32_e32 v62, 6, v171
	v_fmac_f64_e32 v[88:89], v[90:91], v[16:17]
	s_waitcnt vmcnt(12) lgkmcnt(6)
	v_mul_f64 v[16:17], v[98:99], v[14:15]
	global_load_dwordx4 v[116:119], v62, s[8:9]
	v_fma_f64 v[156:157], v[96:97], v[12:13], -v[16:17]
	global_load_dwordx4 v[16:19], v62, s[8:9] offset:16
	global_load_dwordx4 v[20:23], v102, s[8:9] offset:48
	v_mul_f64 v[96:97], v[96:97], v[14:15]
	v_fmac_f64_e32 v[96:97], v[98:99], v[12:13]
	s_waitcnt vmcnt(14) lgkmcnt(4)
	v_mul_f64 v[12:13], v[94:95], v[10:11]
	v_mul_f64 v[110:111], v[92:93], v[10:11]
	v_fma_f64 v[158:159], v[92:93], v[8:9], -v[12:13]
	v_fmac_f64_e32 v[110:111], v[94:95], v[8:9]
	global_load_dwordx4 v[8:11], v62, s[8:9] offset:32
	global_load_dwordx4 v[12:15], v62, s[8:9] offset:48
	v_mul_u32_u24_sdwa v62, v138, s18 dst_sel:DWORD dst_unused:UNUSED_PAD src0_sel:WORD_0 src1_sel:DWORD
	v_lshrrev_b32_e32 v168, 19, v62
	v_mul_lo_u16_e32 v62, 10, v168
	v_sub_u16_e32 v169, v138, v62
	s_waitcnt vmcnt(15)
	v_mul_f64 v[60:61], v[58:59], v[38:39]
	v_lshlrev_b32_e32 v62, 6, v169
	v_fma_f64 v[90:91], v[56:57], v[36:37], -v[60:61]
	v_mul_f64 v[56:57], v[56:57], v[38:39]
	global_load_dwordx4 v[144:147], v62, s[8:9]
	global_load_dwordx4 v[172:175], v62, s[8:9] offset:16
	v_fmac_f64_e32 v[56:57], v[58:59], v[36:37]
	s_waitcnt vmcnt(16)
	v_mul_f64 v[36:37], v[86:87], v[34:35]
	v_mul_f64 v[58:59], v[84:85], v[34:35]
	v_fma_f64 v[98:99], v[84:85], v[32:33], -v[36:37]
	v_fmac_f64_e32 v[58:59], v[86:87], v[32:33]
	s_waitcnt vmcnt(15)
	v_mul_f64 v[32:33], v[82:83], v[30:31]
	global_load_dwordx4 v[176:179], v62, s[8:9] offset:32
	v_mul_f64 v[84:85], v[80:81], v[30:31]
	v_fma_f64 v[102:103], v[80:81], v[28:29], -v[32:33]
	v_fmac_f64_e32 v[84:85], v[82:83], v[28:29]
	global_load_dwordx4 v[80:83], v62, s[8:9] offset:48
	s_waitcnt vmcnt(16) lgkmcnt(3)
	v_mul_f64 v[28:29], v[78:79], v[26:27]
	v_fma_f64 v[154:155], v[76:77], v[24:25], -v[28:29]
	ds_read_b128 v[28:31], v160 offset:30240
	v_mul_f64 v[100:101], v[76:77], v[26:27]
	v_fmac_f64_e32 v[100:101], v[78:79], v[24:25]
	ds_read_b128 v[24:27], v160 offset:19440
	s_waitcnt vmcnt(15) lgkmcnt(4)
	v_mul_f64 v[32:33], v[74:75], v[50:51]
	v_mul_f64 v[60:61], v[72:73], v[50:51]
	ds_read_b128 v[36:39], v160 offset:43200
	v_fma_f64 v[86:87], v[72:73], v[48:49], -v[32:33]
	v_fmac_f64_e32 v[60:61], v[74:75], v[48:49]
	ds_read_b128 v[32:35], v160 offset:32400
	s_waitcnt vmcnt(14) lgkmcnt(3)
	v_mul_f64 v[48:49], v[30:31], v[46:47]
	v_fma_f64 v[92:93], v[28:29], v[44:45], -v[48:49]
	ds_read_b128 v[48:51], v160 offset:56160
	v_mul_f64 v[46:47], v[28:29], v[46:47]
	v_fmac_f64_e32 v[46:47], v[30:31], v[44:45]
	ds_read_b128 v[28:31], v160 offset:45360
	s_waitcnt vmcnt(13) lgkmcnt(3)
	v_mul_f64 v[44:45], v[38:39], v[54:55]
	v_fma_f64 v[94:95], v[36:37], v[52:53], -v[44:45]
	v_mul_f64 v[44:45], v[36:37], v[54:55]
	v_fmac_f64_e32 v[44:45], v[38:39], v[52:53]
	s_waitcnt vmcnt(12) lgkmcnt(1)
	v_mul_f64 v[52:53], v[50:51], v[42:43]
	v_mul_f64 v[74:75], v[48:49], v[42:43]
	v_fma_f64 v[152:153], v[48:49], v[40:41], -v[52:53]
	v_fmac_f64_e32 v[74:75], v[50:51], v[40:41]
	s_waitcnt vmcnt(11)
	v_mul_f64 v[40:41], v[26:27], v[70:71]
	v_fma_f64 v[76:77], v[24:25], v[68:69], -v[40:41]
	v_mul_f64 v[48:49], v[24:25], v[70:71]
	s_waitcnt vmcnt(10)
	v_mul_f64 v[24:25], v[34:35], v[66:67]
	s_waitcnt vmcnt(9) lgkmcnt(0)
	v_mul_f64 v[62:63], v[28:29], v[114:115]
	v_fma_f64 v[148:149], v[32:33], v[64:65], -v[24:25]
	v_mul_f64 v[52:53], v[32:33], v[66:67]
	v_mul_f64 v[24:25], v[30:31], v[114:115]
	v_fmac_f64_e32 v[62:63], v[30:31], v[112:113]
	ds_read_b128 v[30:33], v160 offset:34560
	ds_read_b128 v[36:39], v160 offset:58320
	v_fmac_f64_e32 v[48:49], v[26:27], v[68:69]
	v_fma_f64 v[66:67], v[28:29], v[112:113], -v[24:25]
	ds_read_b128 v[24:27], v160 offset:21600
	ds_read_b128 v[68:71], v160 offset:60480
	v_fmac_f64_e32 v[52:53], v[34:35], v[64:65]
	v_add_f64 v[72:73], v[88:89], -v[96:97]
	s_waitcnt vmcnt(7) lgkmcnt(3)
	v_mul_f64 v[34:35], v[32:33], v[18:19]
	v_fma_f64 v[42:43], v[30:31], v[16:17], -v[34:35]
	v_mul_f64 v[30:31], v[30:31], v[18:19]
	v_fmac_f64_e32 v[30:31], v[32:33], v[16:17]
	ds_read_b128 v[16:19], v160 offset:49680
	s_waitcnt vmcnt(6) lgkmcnt(3)
	v_mul_f64 v[28:29], v[38:39], v[22:23]
	v_fma_f64 v[150:151], v[36:37], v[20:21], -v[28:29]
	s_waitcnt lgkmcnt(2)
	v_mul_f64 v[28:29], v[26:27], v[118:119]
	v_mul_f64 v[78:79], v[36:37], v[22:23]
	v_fma_f64 v[36:37], v[24:25], v[116:117], -v[28:29]
	v_mul_f64 v[28:29], v[24:25], v[118:119]
	v_fmac_f64_e32 v[78:79], v[38:39], v[20:21]
	v_fmac_f64_e32 v[28:29], v[26:27], v[116:117]
	ds_read_b128 v[24:27], v160 offset:36720
	ds_read_b128 v[38:41], v160 offset:47520
	;; [unrolled: 1-line block ×3, first 2 shown]
	s_waitcnt vmcnt(5) lgkmcnt(1)
	v_mul_f64 v[32:33], v[40:41], v[10:11]
	v_fma_f64 v[50:51], v[38:39], v[8:9], -v[32:33]
	v_mul_f64 v[32:33], v[38:39], v[10:11]
	v_fmac_f64_e32 v[32:33], v[40:41], v[8:9]
	s_waitcnt vmcnt(4)
	v_mul_f64 v[8:9], v[70:71], v[14:15]
	v_fma_f64 v[54:55], v[68:69], v[12:13], -v[8:9]
	s_waitcnt vmcnt(3) lgkmcnt(0)
	v_mul_f64 v[8:9], v[22:23], v[146:147]
	v_fma_f64 v[34:35], v[20:21], v[144:145], -v[8:9]
	s_waitcnt vmcnt(2)
	v_mul_f64 v[8:9], v[26:27], v[174:175]
	v_mul_f64 v[38:39], v[20:21], v[146:147]
	v_fma_f64 v[118:119], v[24:25], v[172:173], -v[8:9]
	s_waitcnt vmcnt(1)
	v_mul_f64 v[8:9], v[18:19], v[178:179]
	v_fmac_f64_e32 v[38:39], v[22:23], v[144:145]
	v_fma_f64 v[144:145], v[16:17], v[176:177], -v[8:9]
	v_mul_f64 v[114:115], v[16:17], v[178:179]
	s_waitcnt vmcnt(0)
	v_mul_f64 v[16:17], v[182:183], v[82:83]
	v_fmac_f64_e32 v[114:115], v[18:19], v[176:177]
	v_fma_f64 v[146:147], v[180:181], v[80:81], -v[16:17]
	v_add_f64 v[16:17], v[0:1], v[104:105]
	v_add_f64 v[18:19], v[2:3], v[106:107]
	;; [unrolled: 1-line block ×4, first 2 shown]
	v_mul_u32_u24_e32 v20, 0x320, v139
	v_mov_b32_e32 v139, 4
	v_add_f64 v[16:17], v[16:17], v[156:157]
	v_add_f64 v[18:19], v[18:19], v[96:97]
	v_lshlrev_b32_sdwa v21, v139, v162 dst_sel:DWORD dst_unused:UNUSED_PAD src0_sel:DWORD src1_sel:BYTE_0
	v_mul_f64 v[40:41], v[68:69], v[14:15]
	v_mul_f64 v[112:113], v[24:25], v[174:175]
	v_add_f64 v[16:17], v[16:17], v[158:159]
	v_add_f64 v[18:19], v[18:19], v[110:111]
	v_add3_u32 v176, 0, v20, v21
	v_fmac_f64_e32 v[40:41], v[70:71], v[12:13]
	v_fmac_f64_e32 v[112:113], v[26:27], v[172:173]
	ds_read_b128 v[12:15], v127
	ds_read_b128 v[8:11], v137
	v_lshl_add_u32 v162, v138, 4, 0
	ds_read_b128 v[24:27], v163
	ds_read_b128 v[20:23], v162
	s_waitcnt lgkmcnt(0)
	s_barrier
	ds_write_b128 v176, v[16:19]
	v_add_f64 v[16:17], v[104:105], -v[108:109]
	v_add_f64 v[18:19], v[158:159], -v[156:157]
	v_mul_f64 v[116:117], v[180:181], v[82:83]
	v_add_f64 v[64:65], v[16:17], v[18:19]
	v_add_f64 v[16:17], v[108:109], v[156:157]
	v_fmac_f64_e32 v[116:117], v[182:183], v[80:81]
	v_fma_f64 v[80:81], -0.5, v[16:17], v[0:1]
	v_add_f64 v[16:17], v[88:89], v[96:97]
	v_fma_f64 v[82:83], -0.5, v[16:17], v[2:3]
	v_add_f64 v[16:17], v[106:107], -v[88:89]
	v_add_f64 v[18:19], v[110:111], -v[96:97]
	;; [unrolled: 1-line block ×4, first 2 shown]
	v_add_f64 v[68:69], v[16:17], v[18:19]
	v_fma_f64 v[16:17], s[4:5], v[70:71], v[80:81]
	v_fma_f64 v[18:19], s[14:15], v[172:173], v[82:83]
	v_add_f64 v[174:175], v[108:109], -v[156:157]
	v_fmac_f64_e32 v[16:17], s[10:11], v[72:73]
	v_fmac_f64_e32 v[18:19], s[16:17], v[174:175]
	v_fmac_f64_e32 v[16:17], s[12:13], v[64:65]
	v_fmac_f64_e32 v[18:19], s[12:13], v[68:69]
	ds_write_b128 v176, v[16:19] offset:160
	v_add_f64 v[16:17], v[104:105], v[158:159]
	v_fmac_f64_e32 v[0:1], -0.5, v[16:17]
	v_add_f64 v[16:17], v[108:109], -v[104:105]
	v_add_f64 v[18:19], v[156:157], -v[158:159]
	v_fma_f64 v[104:105], s[14:15], v[72:73], v[0:1]
	v_fmac_f64_e32 v[0:1], s[4:5], v[72:73]
	v_add_f64 v[16:17], v[16:17], v[18:19]
	v_fmac_f64_e32 v[104:105], s[10:11], v[70:71]
	v_fmac_f64_e32 v[0:1], s[16:17], v[70:71]
	;; [unrolled: 1-line block ×4, first 2 shown]
	v_add_f64 v[16:17], v[106:107], v[110:111]
	v_fmac_f64_e32 v[2:3], -0.5, v[16:17]
	v_add_f64 v[16:17], v[88:89], -v[106:107]
	v_add_f64 v[18:19], v[96:97], -v[110:111]
	v_fma_f64 v[106:107], s[4:5], v[174:175], v[2:3]
	v_fmac_f64_e32 v[2:3], s[14:15], v[174:175]
	v_add_f64 v[16:17], v[16:17], v[18:19]
	v_fmac_f64_e32 v[106:107], s[16:17], v[172:173]
	v_fmac_f64_e32 v[2:3], s[10:11], v[172:173]
	;; [unrolled: 1-line block ×5, first 2 shown]
	v_add_f64 v[16:17], v[90:91], -v[98:99]
	v_add_f64 v[18:19], v[154:155], -v[102:103]
	v_fmac_f64_e32 v[80:81], s[14:15], v[70:71]
	v_fmac_f64_e32 v[82:83], s[10:11], v[174:175]
	v_add_f64 v[16:17], v[16:17], v[18:19]
	v_add_f64 v[18:19], v[98:99], v[102:103]
	v_fmac_f64_e32 v[80:81], s[16:17], v[72:73]
	v_fmac_f64_e32 v[82:83], s[12:13], v[68:69]
	v_fma_f64 v[68:69], -0.5, v[18:19], v[12:13]
	v_add_f64 v[18:19], v[56:57], -v[100:101]
	v_fmac_f64_e32 v[80:81], s[12:13], v[64:65]
	v_add_f64 v[64:65], v[58:59], -v[84:85]
	v_fma_f64 v[96:97], s[4:5], v[18:19], v[68:69]
	v_fmac_f64_e32 v[68:69], s[14:15], v[18:19]
	v_fmac_f64_e32 v[96:97], s[10:11], v[64:65]
	;; [unrolled: 1-line block ×3, first 2 shown]
	v_add_f64 v[70:71], v[90:91], v[154:155]
	v_fmac_f64_e32 v[96:97], s[12:13], v[16:17]
	v_fmac_f64_e32 v[68:69], s[12:13], v[16:17]
	v_add_f64 v[16:17], v[12:13], v[90:91]
	v_fmac_f64_e32 v[12:13], -0.5, v[70:71]
	v_fma_f64 v[88:89], s[14:15], v[64:65], v[12:13]
	v_fmac_f64_e32 v[12:13], s[4:5], v[64:65]
	v_add_f64 v[16:17], v[16:17], v[98:99]
	v_add_f64 v[70:71], v[98:99], -v[90:91]
	v_add_f64 v[72:73], v[102:103], -v[154:155]
	v_fmac_f64_e32 v[88:89], s[10:11], v[18:19]
	v_fmac_f64_e32 v[12:13], s[16:17], v[18:19]
	v_add_f64 v[16:17], v[16:17], v[102:103]
	v_add_f64 v[18:19], v[14:15], v[56:57]
	v_add_f64 v[70:71], v[70:71], v[72:73]
	v_add_f64 v[18:19], v[18:19], v[58:59]
	v_add_f64 v[108:109], v[16:17], v[154:155]
	v_add_f64 v[16:17], v[58:59], v[84:85]
	v_fmac_f64_e32 v[88:89], s[12:13], v[70:71]
	v_fmac_f64_e32 v[12:13], s[12:13], v[70:71]
	v_add_f64 v[18:19], v[18:19], v[84:85]
	v_fma_f64 v[70:71], -0.5, v[16:17], v[14:15]
	v_add_f64 v[16:17], v[90:91], -v[154:155]
	v_add_f64 v[110:111], v[18:19], v[100:101]
	v_add_f64 v[18:19], v[98:99], -v[102:103]
	v_add_f64 v[64:65], v[56:57], -v[58:59]
	;; [unrolled: 1-line block ×3, first 2 shown]
	v_fma_f64 v[98:99], s[14:15], v[16:17], v[70:71]
	v_fmac_f64_e32 v[70:71], s[4:5], v[16:17]
	v_add_f64 v[64:65], v[64:65], v[72:73]
	v_fmac_f64_e32 v[98:99], s[16:17], v[18:19]
	v_fmac_f64_e32 v[70:71], s[10:11], v[18:19]
	;; [unrolled: 1-line block ×4, first 2 shown]
	v_add_f64 v[64:65], v[56:57], v[100:101]
	v_fmac_f64_e32 v[14:15], -0.5, v[64:65]
	v_fma_f64 v[90:91], s[4:5], v[18:19], v[14:15]
	v_fmac_f64_e32 v[14:15], s[14:15], v[18:19]
	v_add_f64 v[56:57], v[58:59], -v[56:57]
	v_add_f64 v[58:59], v[84:85], -v[100:101]
	v_fmac_f64_e32 v[90:91], s[16:17], v[16:17]
	v_fmac_f64_e32 v[14:15], s[10:11], v[16:17]
	v_add_f64 v[16:17], v[86:87], -v[92:93]
	v_add_f64 v[18:19], v[152:153], -v[94:95]
	v_add_f64 v[56:57], v[56:57], v[58:59]
	v_add_f64 v[16:17], v[16:17], v[18:19]
	;; [unrolled: 1-line block ×3, first 2 shown]
	v_fmac_f64_e32 v[90:91], s[12:13], v[56:57]
	v_fmac_f64_e32 v[14:15], s[12:13], v[56:57]
	v_fma_f64 v[56:57], -0.5, v[18:19], v[8:9]
	v_add_f64 v[18:19], v[60:61], -v[74:75]
	v_add_f64 v[58:59], v[46:47], -v[44:45]
	v_fma_f64 v[84:85], s[4:5], v[18:19], v[56:57]
	v_fmac_f64_e32 v[56:57], s[14:15], v[18:19]
	v_fmac_f64_e32 v[84:85], s[10:11], v[58:59]
	;; [unrolled: 1-line block ×3, first 2 shown]
	v_add_f64 v[64:65], v[86:87], v[152:153]
	v_fmac_f64_e32 v[84:85], s[12:13], v[16:17]
	v_fmac_f64_e32 v[56:57], s[12:13], v[16:17]
	v_add_f64 v[16:17], v[8:9], v[86:87]
	v_fmac_f64_e32 v[8:9], -0.5, v[64:65]
	v_add_f64 v[64:65], v[92:93], -v[86:87]
	v_add_f64 v[72:73], v[94:95], -v[152:153]
	v_add_f64 v[64:65], v[64:65], v[72:73]
	v_fma_f64 v[72:73], s[14:15], v[58:59], v[8:9]
	v_fmac_f64_e32 v[8:9], s[4:5], v[58:59]
	v_add_f64 v[16:17], v[16:17], v[92:93]
	v_fmac_f64_e32 v[72:73], s[10:11], v[18:19]
	v_fmac_f64_e32 v[8:9], s[16:17], v[18:19]
	v_add_f64 v[16:17], v[16:17], v[94:95]
	v_add_f64 v[18:19], v[10:11], v[60:61]
	;; [unrolled: 1-line block ×5, first 2 shown]
	v_fmac_f64_e32 v[72:73], s[12:13], v[64:65]
	v_fmac_f64_e32 v[8:9], s[12:13], v[64:65]
	v_add_f64 v[18:19], v[18:19], v[44:45]
	v_fma_f64 v[58:59], -0.5, v[16:17], v[10:11]
	v_add_f64 v[16:17], v[86:87], -v[152:153]
	v_add_f64 v[64:65], v[60:61], -v[46:47]
	;; [unrolled: 1-line block ×3, first 2 shown]
	v_add_f64 v[102:103], v[18:19], v[74:75]
	v_add_f64 v[18:19], v[92:93], -v[94:95]
	v_add_f64 v[64:65], v[64:65], v[86:87]
	v_fma_f64 v[86:87], s[14:15], v[16:17], v[58:59]
	v_fmac_f64_e32 v[58:59], s[4:5], v[16:17]
	v_fmac_f64_e32 v[86:87], s[16:17], v[18:19]
	;; [unrolled: 1-line block ×5, first 2 shown]
	v_add_f64 v[64:65], v[60:61], v[74:75]
	v_fmac_f64_e32 v[10:11], -0.5, v[64:65]
	v_add_f64 v[44:45], v[44:45], -v[74:75]
	v_fma_f64 v[74:75], s[4:5], v[18:19], v[10:11]
	v_fmac_f64_e32 v[10:11], s[14:15], v[18:19]
	v_add_f64 v[46:47], v[46:47], -v[60:61]
	v_fmac_f64_e32 v[74:75], s[16:17], v[16:17]
	v_fmac_f64_e32 v[10:11], s[10:11], v[16:17]
	v_add_f64 v[16:17], v[76:77], -v[148:149]
	v_add_f64 v[18:19], v[150:151], -v[66:67]
	v_add_f64 v[44:45], v[46:47], v[44:45]
	v_add_f64 v[16:17], v[16:17], v[18:19]
	;; [unrolled: 1-line block ×3, first 2 shown]
	v_fmac_f64_e32 v[74:75], s[12:13], v[44:45]
	v_fmac_f64_e32 v[10:11], s[12:13], v[44:45]
	v_fma_f64 v[44:45], -0.5, v[18:19], v[4:5]
	v_add_f64 v[18:19], v[48:49], -v[78:79]
	v_add_f64 v[46:47], v[52:53], -v[62:63]
	v_fma_f64 v[64:65], s[4:5], v[18:19], v[44:45]
	v_fmac_f64_e32 v[44:45], s[14:15], v[18:19]
	v_fmac_f64_e32 v[64:65], s[10:11], v[46:47]
	;; [unrolled: 1-line block ×3, first 2 shown]
	v_add_f64 v[60:61], v[76:77], v[150:151]
	v_fmac_f64_e32 v[64:65], s[12:13], v[16:17]
	v_fmac_f64_e32 v[44:45], s[12:13], v[16:17]
	v_add_f64 v[16:17], v[4:5], v[76:77]
	v_fmac_f64_e32 v[4:5], -0.5, v[60:61]
	v_add_f64 v[60:61], v[148:149], -v[76:77]
	v_add_f64 v[92:93], v[66:67], -v[150:151]
	v_add_f64 v[92:93], v[60:61], v[92:93]
	v_fma_f64 v[60:61], s[14:15], v[46:47], v[4:5]
	v_fmac_f64_e32 v[4:5], s[4:5], v[46:47]
	v_fmac_f64_e32 v[60:61], s[10:11], v[18:19]
	;; [unrolled: 1-line block ×3, first 2 shown]
	v_add_f64 v[16:17], v[16:17], v[148:149]
	v_add_f64 v[18:19], v[6:7], v[48:49]
	;; [unrolled: 1-line block ×4, first 2 shown]
	v_fmac_f64_e32 v[60:61], s[12:13], v[92:93]
	v_fmac_f64_e32 v[4:5], s[12:13], v[92:93]
	v_add_f64 v[18:19], v[18:19], v[62:63]
	v_add_f64 v[92:93], v[16:17], v[150:151]
	;; [unrolled: 1-line block ×4, first 2 shown]
	v_fma_f64 v[46:47], -0.5, v[16:17], v[6:7]
	v_add_f64 v[16:17], v[76:77], -v[150:151]
	v_add_f64 v[18:19], v[148:149], -v[66:67]
	v_add_f64 v[66:67], v[48:49], -v[52:53]
	v_add_f64 v[76:77], v[78:79], -v[62:63]
	v_add_f64 v[76:77], v[66:67], v[76:77]
	v_fma_f64 v[66:67], s[14:15], v[16:17], v[46:47]
	v_fmac_f64_e32 v[46:47], s[4:5], v[16:17]
	v_fmac_f64_e32 v[66:67], s[16:17], v[18:19]
	;; [unrolled: 1-line block ×5, first 2 shown]
	v_add_f64 v[76:77], v[48:49], v[78:79]
	v_fmac_f64_e32 v[6:7], -0.5, v[76:77]
	v_add_f64 v[48:49], v[52:53], -v[48:49]
	v_add_f64 v[52:53], v[62:63], -v[78:79]
	v_fma_f64 v[62:63], s[4:5], v[18:19], v[6:7]
	v_fmac_f64_e32 v[6:7], s[14:15], v[18:19]
	v_fmac_f64_e32 v[62:63], s[16:17], v[16:17]
	;; [unrolled: 1-line block ×3, first 2 shown]
	v_add_f64 v[16:17], v[36:37], -v[42:43]
	v_add_f64 v[18:19], v[54:55], -v[50:51]
	v_add_f64 v[18:19], v[16:17], v[18:19]
	v_add_f64 v[16:17], v[42:43], v[50:51]
	v_fma_f64 v[16:17], -0.5, v[16:17], v[24:25]
	v_add_f64 v[76:77], v[28:29], -v[40:41]
	v_add_f64 v[48:49], v[48:49], v[52:53]
	v_add_f64 v[78:79], v[30:31], -v[32:33]
	v_fma_f64 v[52:53], s[4:5], v[76:77], v[16:17]
	v_fmac_f64_e32 v[16:17], s[14:15], v[76:77]
	v_fmac_f64_e32 v[62:63], s[12:13], v[48:49]
	;; [unrolled: 1-line block ×5, first 2 shown]
	v_add_f64 v[48:49], v[36:37], v[54:55]
	v_fmac_f64_e32 v[52:53], s[12:13], v[18:19]
	v_fmac_f64_e32 v[16:17], s[12:13], v[18:19]
	v_add_f64 v[18:19], v[24:25], v[36:37]
	v_fmac_f64_e32 v[24:25], -0.5, v[48:49]
	v_add_f64 v[48:49], v[42:43], -v[36:37]
	v_add_f64 v[148:149], v[50:51], -v[54:55]
	v_add_f64 v[148:149], v[48:49], v[148:149]
	v_fma_f64 v[48:49], s[14:15], v[78:79], v[24:25]
	v_fmac_f64_e32 v[24:25], s[4:5], v[78:79]
	v_fmac_f64_e32 v[48:49], s[10:11], v[76:77]
	;; [unrolled: 1-line block ×3, first 2 shown]
	v_add_f64 v[18:19], v[18:19], v[42:43]
	v_add_f64 v[76:77], v[26:27], v[28:29]
	;; [unrolled: 1-line block ×7, first 2 shown]
	v_fma_f64 v[18:19], -0.5, v[18:19], v[26:27]
	v_add_f64 v[36:37], v[36:37], -v[54:55]
	v_add_f64 v[42:43], v[42:43], -v[50:51]
	v_add_f64 v[50:51], v[28:29], -v[30:31]
	v_add_f64 v[54:55], v[40:41], -v[32:33]
	v_add_f64 v[50:51], v[50:51], v[54:55]
	v_fma_f64 v[54:55], s[14:15], v[36:37], v[18:19]
	v_fmac_f64_e32 v[18:19], s[4:5], v[36:37]
	v_fmac_f64_e32 v[54:55], s[16:17], v[42:43]
	;; [unrolled: 1-line block ×5, first 2 shown]
	v_add_f64 v[50:51], v[28:29], v[40:41]
	v_fmac_f64_e32 v[26:27], -0.5, v[50:51]
	v_add_f64 v[28:29], v[30:31], -v[28:29]
	v_add_f64 v[30:31], v[32:33], -v[40:41]
	v_fma_f64 v[50:51], s[4:5], v[42:43], v[26:27]
	v_fmac_f64_e32 v[26:27], s[14:15], v[42:43]
	v_add_f64 v[28:29], v[28:29], v[30:31]
	v_fmac_f64_e32 v[50:51], s[16:17], v[36:37]
	v_fmac_f64_e32 v[26:27], s[10:11], v[36:37]
	;; [unrolled: 1-line block ×4, first 2 shown]
	v_add_f64 v[28:29], v[34:35], -v[118:119]
	v_add_f64 v[30:31], v[146:147], -v[144:145]
	v_add_f64 v[30:31], v[28:29], v[30:31]
	v_add_f64 v[28:29], v[118:119], v[144:145]
	;; [unrolled: 1-line block ×3, first 2 shown]
	v_fma_f64 v[28:29], -0.5, v[28:29], v[20:21]
	v_add_f64 v[40:41], v[38:39], -v[116:117]
	v_add_f64 v[42:43], v[112:113], -v[114:115]
	v_fma_f64 v[32:33], s[4:5], v[40:41], v[28:29]
	v_fmac_f64_e32 v[28:29], s[14:15], v[40:41]
	v_fmac_f64_e32 v[32:33], s[10:11], v[42:43]
	;; [unrolled: 1-line block ×3, first 2 shown]
	v_add_f64 v[36:37], v[34:35], v[146:147]
	v_fmac_f64_e32 v[48:49], s[12:13], v[148:149]
	v_fmac_f64_e32 v[24:25], s[12:13], v[148:149]
	;; [unrolled: 1-line block ×4, first 2 shown]
	v_add_f64 v[30:31], v[20:21], v[34:35]
	v_fmac_f64_e32 v[20:21], -0.5, v[36:37]
	v_add_f64 v[36:37], v[118:119], -v[34:35]
	v_add_f64 v[148:149], v[144:145], -v[146:147]
	v_add_f64 v[148:149], v[36:37], v[148:149]
	v_fma_f64 v[36:37], s[14:15], v[42:43], v[20:21]
	v_fmac_f64_e32 v[20:21], s[4:5], v[42:43]
	v_fmac_f64_e32 v[36:37], s[10:11], v[40:41]
	;; [unrolled: 1-line block ×3, first 2 shown]
	v_add_f64 v[30:31], v[30:31], v[118:119]
	v_add_f64 v[40:41], v[22:23], v[38:39]
	ds_write_b128 v176, v[104:107] offset:320
	ds_write_b128 v176, v[0:3] offset:480
	;; [unrolled: 1-line block ×3, first 2 shown]
	v_mul_u32_u24_e32 v0, 0x320, v166
	v_lshlrev_b32_e32 v1, 4, v167
	v_add_f64 v[30:31], v[30:31], v[144:145]
	v_add_f64 v[40:41], v[40:41], v[112:113]
	v_add3_u32 v0, 0, v0, v1
	v_add_f64 v[42:43], v[40:41], v[114:115]
	v_add_f64 v[40:41], v[30:31], v[146:147]
	;; [unrolled: 1-line block ×3, first 2 shown]
	ds_write_b128 v0, v[108:111]
	ds_write_b128 v0, v[96:99] offset:160
	ds_write_b128 v0, v[88:91] offset:320
	;; [unrolled: 1-line block ×4, first 2 shown]
	v_mul_u32_u24_e32 v0, 0x320, v141
	v_lshlrev_b32_e32 v1, 4, v143
	v_fma_f64 v[30:31], -0.5, v[30:31], v[22:23]
	v_add_f64 v[146:147], v[34:35], -v[146:147]
	v_add_f64 v[118:119], v[118:119], -v[144:145]
	;; [unrolled: 1-line block ×4, first 2 shown]
	v_add3_u32 v0, 0, v0, v1
	v_add_f64 v[144:145], v[34:35], v[144:145]
	v_fma_f64 v[34:35], s[14:15], v[146:147], v[30:31]
	v_fmac_f64_e32 v[30:31], s[4:5], v[146:147]
	ds_write_b128 v0, v[100:103]
	ds_write_b128 v0, v[84:87] offset:160
	ds_write_b128 v0, v[72:75] offset:320
	;; [unrolled: 1-line block ×4, first 2 shown]
	v_mul_u32_u24_e32 v0, 0x320, v164
	v_lshlrev_b32_e32 v1, 4, v165
	v_fmac_f64_e32 v[34:35], s[16:17], v[118:119]
	v_fmac_f64_e32 v[30:31], s[10:11], v[118:119]
	v_add3_u32 v0, 0, v0, v1
	v_fmac_f64_e32 v[34:35], s[12:13], v[144:145]
	v_fmac_f64_e32 v[30:31], s[12:13], v[144:145]
	v_add_f64 v[144:145], v[38:39], v[116:117]
	ds_write_b128 v0, v[92:95]
	ds_write_b128 v0, v[64:67] offset:160
	ds_write_b128 v0, v[60:63] offset:320
	;; [unrolled: 1-line block ×4, first 2 shown]
	v_mul_u32_u24_e32 v0, 0x320, v170
	v_lshlrev_b32_e32 v1, 4, v171
	v_fmac_f64_e32 v[22:23], -0.5, v[144:145]
	v_add_f64 v[38:39], v[112:113], -v[38:39]
	v_add_f64 v[112:113], v[114:115], -v[116:117]
	v_add3_u32 v0, 0, v0, v1
	v_add_f64 v[112:113], v[38:39], v[112:113]
	v_fma_f64 v[38:39], s[4:5], v[118:119], v[22:23]
	v_fmac_f64_e32 v[22:23], s[14:15], v[118:119]
	ds_write_b128 v0, v[76:79]
	ds_write_b128 v0, v[52:55] offset:160
	ds_write_b128 v0, v[48:51] offset:320
	;; [unrolled: 1-line block ×4, first 2 shown]
	v_mul_u32_u24_e32 v0, 0x320, v168
	v_lshlrev_b32_e32 v1, 4, v169
	v_add_f64 v[42:43], v[42:43], v[116:117]
	v_fmac_f64_e32 v[38:39], s[16:17], v[146:147]
	v_fmac_f64_e32 v[22:23], s[10:11], v[146:147]
	v_add3_u32 v0, 0, v0, v1
	v_fmac_f64_e32 v[36:37], s[12:13], v[148:149]
	v_fmac_f64_e32 v[20:21], s[12:13], v[148:149]
	;; [unrolled: 1-line block ×4, first 2 shown]
	ds_write_b128 v0, v[40:43]
	ds_write_b128 v0, v[32:35] offset:160
	ds_write_b128 v0, v[36:39] offset:320
	;; [unrolled: 1-line block ×4, first 2 shown]
	v_mov_b32_e32 v0, 41
	v_mul_lo_u16_sdwa v0, v122, v0 dst_sel:DWORD dst_unused:UNUSED_PAD src0_sel:BYTE_0 src1_sel:DWORD
	v_lshrrev_b16_e32 v148, 11, v0
	v_mul_lo_u16_e32 v0, 50, v148
	v_sub_u16_e32 v149, v122, v0
	v_mov_b32_e32 v0, 5
	v_lshlrev_b32_sdwa v0, v0, v149 dst_sel:DWORD dst_unused:UNUSED_PAD src0_sel:DWORD src1_sel:BYTE_0
	s_waitcnt lgkmcnt(0)
	s_barrier
	global_load_dwordx4 v[12:15], v0, s[8:9] offset:640
	global_load_dwordx4 v[28:31], v0, s[8:9] offset:656
	v_lshrrev_b16_e32 v0, 1, v126
	v_mul_u32_u24_e32 v0, 0x147b, v0
	v_lshrrev_b32_e32 v146, 17, v0
	v_mul_lo_u16_e32 v0, 50, v146
	v_sub_u16_e32 v147, v126, v0
	v_lshlrev_b32_e32 v0, 5, v147
	global_load_dwordx4 v[36:39], v0, s[8:9] offset:640
	global_load_dwordx4 v[44:47], v0, s[8:9] offset:656
	v_lshrrev_b16_e32 v101, 1, v142
	v_mul_u32_u24_e32 v0, 0x147b, v101
	v_lshrrev_b32_e32 v108, 17, v0
	v_mul_lo_u16_e32 v0, 50, v108
	v_sub_u16_e32 v109, v142, v0
	v_lshlrev_b32_e32 v4, 5, v109
	v_lshrrev_b16_e32 v102, 1, v135
	global_load_dwordx4 v[52:55], v4, s[8:9] offset:640
	ds_read_b128 v[0:3], v160
	ds_read_b128 v[16:19], v160 offset:21600
	global_load_dwordx4 v[48:51], v4, s[8:9] offset:656
	v_mul_u32_u24_e32 v4, 0x147b, v102
	v_lshrrev_b32_e32 v110, 17, v4
	v_mul_lo_u16_e32 v4, 50, v110
	v_sub_u16_e32 v111, v135, v4
	v_lshlrev_b32_e32 v4, 5, v111
	v_lshrrev_b16_e32 v107, 1, v134
	ds_read_b128 v[32:35], v160 offset:43200
	ds_read_b128 v[68:71], v160 offset:45360
	global_load_dwordx4 v[60:63], v4, s[8:9] offset:640
	global_load_dwordx4 v[56:59], v4, s[8:9] offset:656
	v_mul_u32_u24_e32 v4, 0x147b, v107
	v_lshrrev_b16_e32 v104, 1, v132
	v_lshrrev_b32_e32 v112, 17, v4
	v_mul_u32_u24_e32 v22, 0x147b, v104
	v_mul_lo_u16_e32 v4, 50, v112
	v_lshrrev_b32_e32 v118, 17, v22
	v_sub_u16_e32 v113, v134, v4
	v_mul_lo_u16_e32 v22, 50, v118
	v_lshlrev_b32_e32 v6, 5, v113
	v_sub_u16_e32 v119, v132, v22
	global_load_dwordx4 v[72:75], v6, s[8:9] offset:640
	v_lshrrev_b16_e32 v106, 1, v138
	v_lshlrev_b32_e32 v22, 5, v119
	ds_read_b128 v[84:87], v160 offset:23760
	ds_read_b128 v[88:91], v160 offset:25920
	global_load_dwordx4 v[64:67], v6, s[8:9] offset:656
	global_load_dwordx4 v[24:27], v22, s[8:9] offset:640
	v_mul_u32_u24_e32 v6, 0x147b, v106
	v_lshrrev_b16_e32 v103, 1, v136
	v_lshrrev_b32_e32 v114, 17, v6
	v_mul_lo_u16_e32 v6, 50, v114
	v_sub_u16_e32 v115, v138, v6
	v_lshlrev_b32_e32 v6, 5, v115
	global_load_dwordx4 v[8:11], v6, s[8:9] offset:640
	v_lshrrev_b16_e32 v105, 1, v130
	v_lshrrev_b16_e32 v100, 1, v128
	v_mul_u32_u24_e32 v42, 0x147b, v100
	v_lshrrev_b32_e32 v144, 17, v42
	v_mul_lo_u16_e32 v42, 50, v144
	v_sub_u16_e32 v145, v128, v42
	v_lshlrev_b32_e32 v96, 5, v145
	ds_read_b128 v[150:153], v160 offset:28080
	v_lshl_add_u32 v164, v132, 4, 0
	v_lshl_add_u32 v159, v130, 4, 0
	;; [unrolled: 1-line block ×3, first 2 shown]
	s_mov_b32 s4, 0xe8584caa
	s_mov_b32 s5, 0x3febb67a
	;; [unrolled: 1-line block ×5, first 2 shown]
	s_movk_i32 s12, 0x1c20
	s_movk_i32 s14, 0x1000
	s_mov_b32 s16, 0x91a3
	s_movk_i32 s15, 0x1c2
	s_waitcnt vmcnt(11) lgkmcnt(5)
	v_mul_f64 v[4:5], v[18:19], v[14:15]
	v_mul_f64 v[78:79], v[16:17], v[14:15]
	v_mul_u32_u24_e32 v14, 0x147b, v103
	v_lshrrev_b32_e32 v116, 17, v14
	v_mul_lo_u16_e32 v14, 50, v116
	v_sub_u16_e32 v117, v136, v14
	v_lshlrev_b32_e32 v14, 5, v117
	v_fma_f64 v[76:77], v[16:17], v[12:13], -v[4:5]
	v_fmac_f64_e32 v[78:79], v[18:19], v[12:13]
	global_load_dwordx4 v[16:19], v14, s[8:9] offset:640
	s_waitcnt vmcnt(11) lgkmcnt(4)
	v_mul_f64 v[20:21], v[34:35], v[30:31]
	global_load_dwordx4 v[4:7], v6, s[8:9] offset:656
	v_mul_f64 v[82:83], v[32:33], v[30:31]
	global_load_dwordx4 v[12:15], v14, s[8:9] offset:656
	v_mul_u32_u24_e32 v30, 0x147b, v105
	v_lshrrev_b32_e32 v141, 17, v30
	v_mul_lo_u16_e32 v30, 50, v141
	v_fma_f64 v[80:81], v[32:33], v[28:29], -v[20:21]
	global_load_dwordx4 v[20:23], v22, s[8:9] offset:656
	v_sub_u16_e32 v143, v130, v30
	v_lshlrev_b32_e32 v30, 5, v143
	v_fmac_f64_e32 v[82:83], v[34:35], v[28:29]
	global_load_dwordx4 v[32:35], v30, s[8:9] offset:640
	s_waitcnt vmcnt(14) lgkmcnt(2)
	v_mul_f64 v[40:41], v[86:87], v[38:39]
	global_load_dwordx4 v[28:31], v30, s[8:9] offset:656
	v_fma_f64 v[92:93], v[84:85], v[36:37], -v[40:41]
	global_load_dwordx4 v[40:43], v96, s[8:9] offset:640
	v_mul_f64 v[94:95], v[84:85], v[38:39]
	v_fmac_f64_e32 v[94:95], v[86:87], v[36:37]
	global_load_dwordx4 v[36:39], v96, s[8:9] offset:656
	s_waitcnt vmcnt(16)
	v_mul_f64 v[84:85], v[70:71], v[46:47]
	v_mul_f64 v[98:99], v[68:69], v[46:47]
	v_fma_f64 v[96:97], v[68:69], v[44:45], -v[84:85]
	v_fmac_f64_e32 v[98:99], v[70:71], v[44:45]
	ds_read_b128 v[44:47], v160 offset:47520
	s_waitcnt vmcnt(15) lgkmcnt(2)
	v_mul_f64 v[68:69], v[90:91], v[54:55]
	v_mul_f64 v[70:71], v[88:89], v[54:55]
	v_fma_f64 v[68:69], v[88:89], v[52:53], -v[68:69]
	v_fmac_f64_e32 v[70:71], v[90:91], v[52:53]
	ds_read_b128 v[52:55], v160 offset:49680
	s_waitcnt vmcnt(14) lgkmcnt(1)
	v_mul_f64 v[84:85], v[46:47], v[50:51]
	v_mul_f64 v[90:91], v[44:45], v[50:51]
	v_fma_f64 v[86:87], v[44:45], v[48:49], -v[84:85]
	v_fmac_f64_e32 v[90:91], v[46:47], v[48:49]
	ds_read_b128 v[44:47], v160 offset:30240
	s_waitcnt vmcnt(13)
	v_mul_f64 v[48:49], v[152:153], v[62:63]
	v_fma_f64 v[84:85], v[150:151], v[60:61], -v[48:49]
	v_mul_f64 v[62:63], v[150:151], v[62:63]
	s_waitcnt vmcnt(12) lgkmcnt(1)
	v_mul_f64 v[48:49], v[54:55], v[58:59]
	v_mul_f64 v[88:89], v[52:53], v[58:59]
	v_fmac_f64_e32 v[62:63], v[152:153], v[60:61]
	v_fma_f64 v[60:61], v[52:53], v[56:57], -v[48:49]
	v_fmac_f64_e32 v[88:89], v[54:55], v[56:57]
	s_waitcnt vmcnt(11) lgkmcnt(0)
	v_mul_f64 v[48:49], v[46:47], v[74:75]
	ds_read_b128 v[52:55], v160 offset:51840
	v_fma_f64 v[56:57], v[44:45], v[72:73], -v[48:49]
	v_mul_f64 v[58:59], v[44:45], v[74:75]
	ds_read_b128 v[48:51], v160 offset:32400
	v_fmac_f64_e32 v[58:59], v[46:47], v[72:73]
	ds_read_b128 v[44:47], v160 offset:54000
	s_waitcnt vmcnt(10) lgkmcnt(2)
	v_mul_f64 v[72:73], v[54:55], v[66:67]
	v_mul_f64 v[66:67], v[52:53], v[66:67]
	v_fma_f64 v[72:73], v[52:53], v[64:65], -v[72:73]
	v_fmac_f64_e32 v[66:67], v[54:55], v[64:65]
	ds_read_b128 v[52:55], v161
	s_waitcnt vmcnt(8) lgkmcnt(2)
	v_mul_f64 v[64:65], v[50:51], v[10:11]
	v_mul_f64 v[150:151], v[48:49], v[10:11]
	v_fma_f64 v[74:75], v[48:49], v[8:9], -v[64:65]
	v_fmac_f64_e32 v[150:151], v[50:51], v[8:9]
	ds_read_b128 v[8:11], v160 offset:34560
	s_waitcnt vmcnt(6) lgkmcnt(2)
	v_mul_f64 v[48:49], v[46:47], v[6:7]
	v_mul_f64 v[154:155], v[44:45], v[6:7]
	v_fma_f64 v[152:153], v[44:45], v[4:5], -v[48:49]
	v_fmac_f64_e32 v[154:155], v[46:47], v[4:5]
	ds_read_b128 v[4:7], v160 offset:36720
	ds_read_b128 v[44:47], v160 offset:56160
	s_waitcnt lgkmcnt(2)
	v_mul_f64 v[48:49], v[10:11], v[18:19]
	v_mul_f64 v[166:167], v[8:9], v[18:19]
	v_fma_f64 v[156:157], v[8:9], v[16:17], -v[48:49]
	v_fmac_f64_e32 v[166:167], v[10:11], v[16:17]
	ds_read_b128 v[8:11], v160 offset:58320
	s_waitcnt vmcnt(5) lgkmcnt(1)
	v_mul_f64 v[16:17], v[46:47], v[14:15]
	v_mul_f64 v[170:171], v[44:45], v[14:15]
	v_fma_f64 v[168:169], v[44:45], v[12:13], -v[16:17]
	v_fmac_f64_e32 v[170:171], v[46:47], v[12:13]
	v_mul_f64 v[12:13], v[6:7], v[26:27]
	v_mul_f64 v[174:175], v[4:5], v[26:27]
	v_fma_f64 v[172:173], v[4:5], v[24:25], -v[12:13]
	v_fmac_f64_e32 v[174:175], v[6:7], v[24:25]
	ds_read_b128 v[4:7], v160 offset:38880
	s_waitcnt vmcnt(4) lgkmcnt(1)
	v_mul_f64 v[12:13], v[10:11], v[22:23]
	v_fma_f64 v[176:177], v[8:9], v[20:21], -v[12:13]
	v_mul_f64 v[178:179], v[8:9], v[22:23]
	ds_read_b128 v[12:15], v160 offset:60480
	v_fmac_f64_e32 v[178:179], v[10:11], v[20:21]
	ds_read_b128 v[8:11], v160 offset:41040
	s_waitcnt vmcnt(3) lgkmcnt(2)
	v_mul_f64 v[16:17], v[6:7], v[34:35]
	v_mul_f64 v[182:183], v[4:5], v[34:35]
	v_fma_f64 v[180:181], v[4:5], v[32:33], -v[16:17]
	v_fmac_f64_e32 v[182:183], v[6:7], v[32:33]
	ds_read_b128 v[4:7], v160 offset:62640
	s_waitcnt vmcnt(2) lgkmcnt(2)
	v_mul_f64 v[16:17], v[14:15], v[30:31]
	v_fma_f64 v[184:185], v[12:13], v[28:29], -v[16:17]
	v_mul_f64 v[186:187], v[12:13], v[30:31]
	s_waitcnt vmcnt(1) lgkmcnt(1)
	v_mul_f64 v[12:13], v[10:11], v[42:43]
	v_fma_f64 v[188:189], v[8:9], v[40:41], -v[12:13]
	v_mul_f64 v[190:191], v[8:9], v[42:43]
	;; [unrolled: 4-line block ×3, first 2 shown]
	v_add_f64 v[4:5], v[0:1], v[76:77]
	v_fmac_f64_e32 v[194:195], v[6:7], v[36:37]
	v_add_f64 v[36:37], v[4:5], v[80:81]
	v_add_f64 v[4:5], v[2:3], v[78:79]
	;; [unrolled: 1-line block ×3, first 2 shown]
	v_lshlrev_b32_sdwa v4, v139, v149 dst_sel:DWORD dst_unused:UNUSED_PAD src0_sel:DWORD src1_sel:BYTE_0
	v_mul_u32_u24_e32 v5, 0x960, v148
	v_add3_u32 v44, 0, v5, v4
	v_fmac_f64_e32 v[186:187], v[14:15], v[28:29]
	v_fmac_f64_e32 v[190:191], v[10:11], v[40:41]
	ds_read_b128 v[32:35], v127
	ds_read_b128 v[28:31], v137
	;; [unrolled: 1-line block ×8, first 2 shown]
	s_waitcnt lgkmcnt(0)
	s_barrier
	ds_write_b128 v44, v[36:39]
	v_add_f64 v[36:37], v[76:77], v[80:81]
	v_fmac_f64_e32 v[0:1], -0.5, v[36:37]
	v_add_f64 v[36:37], v[78:79], v[82:83]
	v_add_f64 v[40:41], v[78:79], -v[82:83]
	v_fmac_f64_e32 v[2:3], -0.5, v[36:37]
	v_add_f64 v[42:43], v[76:77], -v[80:81]
	v_fma_f64 v[36:37], s[4:5], v[40:41], v[0:1]
	v_fma_f64 v[38:39], s[10:11], v[42:43], v[2:3]
	v_fmac_f64_e32 v[0:1], s[10:11], v[40:41]
	v_fmac_f64_e32 v[2:3], s[4:5], v[42:43]
	ds_write_b128 v44, v[36:39] offset:800
	ds_write_b128 v44, v[0:3] offset:1600
	v_add_f64 v[0:1], v[32:33], v[92:93]
	v_add_f64 v[2:3], v[34:35], v[94:95]
	v_mul_u32_u24_e32 v36, 0x960, v146
	v_lshlrev_b32_e32 v37, 4, v147
	v_add_f64 v[0:1], v[0:1], v[96:97]
	v_add_f64 v[2:3], v[2:3], v[98:99]
	v_add3_u32 v40, 0, v36, v37
	ds_write_b128 v40, v[0:3]
	v_add_f64 v[0:1], v[92:93], v[96:97]
	v_fmac_f64_e32 v[32:33], -0.5, v[0:1]
	v_add_f64 v[0:1], v[94:95], v[98:99]
	v_add_f64 v[36:37], v[94:95], -v[98:99]
	v_fmac_f64_e32 v[34:35], -0.5, v[0:1]
	v_add_f64 v[38:39], v[92:93], -v[96:97]
	v_fma_f64 v[0:1], s[4:5], v[36:37], v[32:33]
	v_fma_f64 v[2:3], s[10:11], v[38:39], v[34:35]
	ds_write_b128 v40, v[0:3] offset:800
	v_add_f64 v[0:1], v[28:29], v[68:69]
	v_fmac_f64_e32 v[32:33], s[10:11], v[36:37]
	v_add_f64 v[36:37], v[0:1], v[86:87]
	v_add_f64 v[0:1], v[30:31], v[70:71]
	v_fmac_f64_e32 v[34:35], s[4:5], v[38:39]
	v_add_f64 v[38:39], v[0:1], v[90:91]
	v_add_f64 v[0:1], v[70:71], v[90:91]
	v_fmac_f64_e32 v[30:31], -0.5, v[0:1]
	v_add_f64 v[0:1], v[68:69], -v[86:87]
	ds_write_b128 v40, v[32:35] offset:1600
	v_fma_f64 v[34:35], s[10:11], v[0:1], v[30:31]
	v_fmac_f64_e32 v[30:31], s[4:5], v[0:1]
	v_add_f64 v[0:1], v[24:25], v[84:85]
	v_add_f64 v[44:45], v[0:1], v[60:61]
	;; [unrolled: 1-line block ×6, first 2 shown]
	v_fmac_f64_e32 v[26:27], -0.5, v[0:1]
	v_add_f64 v[0:1], v[84:85], -v[60:61]
	v_fmac_f64_e32 v[28:29], -0.5, v[2:3]
	v_add_f64 v[2:3], v[70:71], -v[90:91]
	v_fma_f64 v[42:43], s[10:11], v[0:1], v[26:27]
	v_fmac_f64_e32 v[26:27], s[4:5], v[0:1]
	v_add_f64 v[0:1], v[20:21], v[56:57]
	v_fma_f64 v[32:33], s[4:5], v[2:3], v[28:29]
	v_fmac_f64_e32 v[28:29], s[10:11], v[2:3]
	v_add_f64 v[2:3], v[84:85], v[60:61]
	v_add_f64 v[60:61], v[0:1], v[72:73]
	;; [unrolled: 1-line block ×3, first 2 shown]
	v_fmac_f64_e32 v[24:25], -0.5, v[2:3]
	v_add_f64 v[2:3], v[62:63], -v[88:89]
	v_add_f64 v[62:63], v[0:1], v[66:67]
	v_add_f64 v[0:1], v[58:59], v[66:67]
	v_fmac_f64_e32 v[22:23], -0.5, v[0:1]
	v_add_f64 v[0:1], v[56:57], -v[72:73]
	v_fma_f64 v[50:51], s[10:11], v[0:1], v[22:23]
	v_fmac_f64_e32 v[22:23], s[4:5], v[0:1]
	v_add_f64 v[0:1], v[16:17], v[74:75]
	v_fma_f64 v[40:41], s[4:5], v[2:3], v[24:25]
	v_fmac_f64_e32 v[24:25], s[10:11], v[2:3]
	v_add_f64 v[2:3], v[56:57], v[72:73]
	v_add_f64 v[64:65], v[0:1], v[152:153]
	;; [unrolled: 1-line block ×3, first 2 shown]
	v_fmac_f64_e32 v[20:21], -0.5, v[2:3]
	v_add_f64 v[2:3], v[58:59], -v[66:67]
	v_add_f64 v[66:67], v[0:1], v[154:155]
	v_add_f64 v[0:1], v[150:151], v[154:155]
	v_fmac_f64_e32 v[18:19], -0.5, v[0:1]
	v_add_f64 v[0:1], v[74:75], -v[152:153]
	v_fma_f64 v[58:59], s[10:11], v[0:1], v[18:19]
	v_fmac_f64_e32 v[18:19], s[4:5], v[0:1]
	v_add_f64 v[0:1], v[52:53], v[156:157]
	v_add_f64 v[72:73], v[0:1], v[168:169]
	;; [unrolled: 1-line block ×3, first 2 shown]
	v_fma_f64 v[48:49], s[4:5], v[2:3], v[20:21]
	v_fmac_f64_e32 v[20:21], s[10:11], v[2:3]
	v_add_f64 v[2:3], v[74:75], v[152:153]
	v_add_f64 v[74:75], v[0:1], v[170:171]
	;; [unrolled: 1-line block ×3, first 2 shown]
	v_fmac_f64_e32 v[54:55], -0.5, v[0:1]
	v_add_f64 v[0:1], v[156:157], -v[168:169]
	v_fma_f64 v[70:71], s[10:11], v[0:1], v[54:55]
	v_fmac_f64_e32 v[54:55], s[4:5], v[0:1]
	v_add_f64 v[0:1], v[12:13], v[172:173]
	v_add_f64 v[80:81], v[0:1], v[176:177]
	;; [unrolled: 1-line block ×3, first 2 shown]
	v_fmac_f64_e32 v[16:17], -0.5, v[2:3]
	v_add_f64 v[2:3], v[150:151], -v[154:155]
	v_add_f64 v[82:83], v[0:1], v[178:179]
	v_add_f64 v[0:1], v[174:175], v[178:179]
	v_fma_f64 v[56:57], s[4:5], v[2:3], v[16:17]
	v_fmac_f64_e32 v[16:17], s[10:11], v[2:3]
	v_add_f64 v[2:3], v[156:157], v[168:169]
	v_fmac_f64_e32 v[14:15], -0.5, v[0:1]
	v_add_f64 v[0:1], v[172:173], -v[176:177]
	v_fmac_f64_e32 v[52:53], -0.5, v[2:3]
	v_add_f64 v[2:3], v[166:167], -v[170:171]
	v_fma_f64 v[78:79], s[10:11], v[0:1], v[14:15]
	v_fmac_f64_e32 v[14:15], s[4:5], v[0:1]
	v_add_f64 v[0:1], v[8:9], v[180:181]
	v_fma_f64 v[68:69], s[4:5], v[2:3], v[52:53]
	v_fmac_f64_e32 v[52:53], s[10:11], v[2:3]
	v_add_f64 v[2:3], v[172:173], v[176:177]
	v_add_f64 v[88:89], v[0:1], v[184:185]
	;; [unrolled: 1-line block ×3, first 2 shown]
	v_fmac_f64_e32 v[12:13], -0.5, v[2:3]
	v_add_f64 v[2:3], v[174:175], -v[178:179]
	v_add_f64 v[90:91], v[0:1], v[186:187]
	v_add_f64 v[0:1], v[182:183], v[186:187]
	v_fma_f64 v[76:77], s[4:5], v[2:3], v[12:13]
	v_fmac_f64_e32 v[12:13], s[10:11], v[2:3]
	v_add_f64 v[2:3], v[180:181], v[184:185]
	v_fmac_f64_e32 v[10:11], -0.5, v[0:1]
	v_add_f64 v[0:1], v[180:181], -v[184:185]
	v_fmac_f64_e32 v[8:9], -0.5, v[2:3]
	v_add_f64 v[2:3], v[182:183], -v[186:187]
	v_fma_f64 v[86:87], s[10:11], v[0:1], v[10:11]
	v_fmac_f64_e32 v[10:11], s[4:5], v[0:1]
	v_add_f64 v[0:1], v[188:189], v[192:193]
	v_fma_f64 v[84:85], s[4:5], v[2:3], v[8:9]
	v_fmac_f64_e32 v[8:9], s[10:11], v[2:3]
	v_add_f64 v[2:3], v[4:5], v[188:189]
	v_fmac_f64_e32 v[4:5], -0.5, v[0:1]
	v_add_f64 v[92:93], v[190:191], -v[194:195]
	v_fma_f64 v[0:1], s[4:5], v[92:93], v[4:5]
	v_fmac_f64_e32 v[4:5], s[10:11], v[92:93]
	v_add_f64 v[92:93], v[2:3], v[192:193]
	v_add_f64 v[2:3], v[6:7], v[190:191]
	v_add_f64 v[94:95], v[2:3], v[194:195]
	v_add_f64 v[2:3], v[190:191], v[194:195]
	v_fmac_f64_e32 v[6:7], -0.5, v[2:3]
	v_add_f64 v[96:97], v[188:189], -v[192:193]
	v_fma_f64 v[2:3], s[10:11], v[96:97], v[6:7]
	v_fmac_f64_e32 v[6:7], s[4:5], v[96:97]
	v_mul_u32_u24_e32 v96, 0x960, v108
	v_lshlrev_b32_e32 v97, 4, v109
	v_add3_u32 v96, 0, v96, v97
	ds_write_b128 v96, v[36:39]
	ds_write_b128 v96, v[32:35] offset:800
	ds_write_b128 v96, v[28:31] offset:1600
	v_mul_u32_u24_e32 v28, 0x960, v110
	v_lshlrev_b32_e32 v29, 4, v111
	v_add3_u32 v28, 0, v28, v29
	ds_write_b128 v28, v[44:47]
	ds_write_b128 v28, v[40:43] offset:800
	ds_write_b128 v28, v[24:27] offset:1600
	v_mul_u32_u24_e32 v24, 0x960, v112
	v_lshlrev_b32_e32 v25, 4, v113
	v_add3_u32 v24, 0, v24, v25
	ds_write_b128 v24, v[60:63]
	ds_write_b128 v24, v[48:51] offset:800
	ds_write_b128 v24, v[20:23] offset:1600
	v_mul_u32_u24_e32 v20, 0x960, v114
	v_lshlrev_b32_e32 v21, 4, v115
	v_add3_u32 v20, 0, v20, v21
	ds_write_b128 v20, v[64:67]
	ds_write_b128 v20, v[56:59] offset:800
	ds_write_b128 v20, v[16:19] offset:1600
	v_mul_u32_u24_e32 v16, 0x960, v116
	v_lshlrev_b32_e32 v17, 4, v117
	v_add3_u32 v16, 0, v16, v17
	ds_write_b128 v16, v[72:75]
	ds_write_b128 v16, v[68:71] offset:800
	ds_write_b128 v16, v[52:55] offset:1600
	v_mul_u32_u24_e32 v16, 0x960, v118
	v_lshlrev_b32_e32 v17, 4, v119
	v_add3_u32 v16, 0, v16, v17
	ds_write_b128 v16, v[80:83]
	ds_write_b128 v16, v[76:79] offset:800
	ds_write_b128 v16, v[12:15] offset:1600
	v_mul_u32_u24_e32 v12, 0x960, v141
	v_lshlrev_b32_e32 v13, 4, v143
	v_add3_u32 v12, 0, v12, v13
	ds_write_b128 v12, v[88:91]
	ds_write_b128 v12, v[84:87] offset:800
	ds_write_b128 v12, v[8:11] offset:1600
	v_mul_u32_u24_e32 v8, 0x960, v144
	v_lshlrev_b32_e32 v9, 4, v145
	v_lshlrev_b32_e32 v144, 1, v122
	v_mov_b32_e32 v145, 0
	v_add3_u32 v8, 0, v8, v9
	v_lshl_add_u64 v[80:81], v[144:145], 4, s[8:9]
	ds_write_b128 v8, v[92:95]
	ds_write_b128 v8, v[0:3] offset:800
	ds_write_b128 v8, v[4:7] offset:1600
	s_waitcnt lgkmcnt(0)
	s_barrier
	global_load_dwordx4 v[48:51], v[80:81], off offset:2240
	global_load_dwordx4 v[20:23], v[80:81], off offset:2256
	v_add_u32_e32 v0, -15, v122
	v_cndmask_b32_e32 v170, v0, v126, vcc
	v_lshlrev_b32_e32 v0, 1, v170
	v_mov_b32_e32 v1, v145
	v_lshl_add_u64 v[0:1], v[0:1], 4, s[8:9]
	global_load_dwordx4 v[16:19], v[0:1], off offset:2240
	global_load_dwordx4 v[12:15], v[0:1], off offset:2256
	v_mul_u32_u24_e32 v0, 0xda75, v101
	v_lshrrev_b32_e32 v139, 22, v0
	v_mul_lo_u16_e32 v0, 0x96, v139
	v_sub_u16_e32 v141, v142, v0
	v_lshlrev_b32_e32 v0, 5, v141
	global_load_dwordx4 v[36:39], v0, s[8:9] offset:2240
	global_load_dwordx4 v[24:27], v0, s[8:9] offset:2256
	v_mul_u32_u24_e32 v0, 0xda75, v102
	v_lshrrev_b32_e32 v143, 22, v0
	v_mul_lo_u16_e32 v0, 0x96, v143
	v_sub_u16_e32 v135, v135, v0
	v_lshlrev_b32_e32 v0, 5, v135
	global_load_dwordx4 v[44:47], v0, s[8:9] offset:2240
	global_load_dwordx4 v[40:43], v0, s[8:9] offset:2256
	v_mul_u32_u24_e32 v0, 0xda75, v107
	v_lshrrev_b32_e32 v166, 22, v0
	v_mul_lo_u16_e32 v0, 0x96, v166
	v_sub_u16_e32 v152, v134, v0
	v_lshlrev_b32_e32 v0, 5, v152
	global_load_dwordx4 v[60:63], v0, s[8:9] offset:2240
	ds_read_b128 v[8:11], v160
	ds_read_b128 v[64:67], v160 offset:21600
	global_load_dwordx4 v[56:59], v0, s[8:9] offset:2256
	v_mul_u32_u24_e32 v0, 0xda75, v106
	v_lshrrev_b32_e32 v153, 22, v0
	v_mul_u32_u24_e32 v54, 0xda75, v103
	v_mul_lo_u16_e32 v0, 0x96, v153
	v_lshrrev_b32_e32 v155, 22, v54
	v_sub_u16_e32 v154, v138, v0
	v_mul_lo_u16_e32 v54, 0x96, v155
	v_lshlrev_b32_e32 v28, 5, v154
	v_sub_u16_e32 v156, v136, v54
	ds_read_b128 v[82:85], v160 offset:43200
	ds_read_b128 v[94:97], v160 offset:45360
	ds_read_b128 v[4:7], v127
	ds_read_b128 v[0:3], v137
	global_load_dwordx4 v[32:35], v28, s[8:9] offset:2240
	v_lshlrev_b32_e32 v68, 5, v156
	ds_read_b128 v[88:91], v160 offset:23760
	v_cmp_lt_u32_e32 vcc, 14, v122
	s_waitcnt vmcnt(10) lgkmcnt(5)
	v_mul_f64 v[52:53], v[66:67], v[50:51]
	v_fma_f64 v[72:73], v[64:65], v[48:49], -v[52:53]
	v_mul_f64 v[74:75], v[64:65], v[50:51]
	v_mul_u32_u24_e32 v64, 0xda75, v104
	v_lshrrev_b32_e32 v157, 22, v64
	v_mul_lo_u16_e32 v64, 0x96, v157
	v_sub_u16_e32 v165, v132, v64
	v_fmac_f64_e32 v[74:75], v[66:67], v[48:49]
	v_lshlrev_b32_e32 v66, 5, v165
	global_load_dwordx4 v[52:55], v68, s[8:9] offset:2240
	global_load_dwordx4 v[48:51], v68, s[8:9] offset:2256
	s_waitcnt vmcnt(11) lgkmcnt(4)
	v_mul_f64 v[64:65], v[84:85], v[22:23]
	global_load_dwordx4 v[68:71], v66, s[8:9] offset:2240
	v_mul_f64 v[78:79], v[82:83], v[22:23]
	global_load_dwordx4 v[28:31], v28, s[8:9] offset:2256
	v_mul_u32_u24_e32 v22, 0xda75, v105
	v_lshrrev_b32_e32 v167, 22, v22
	v_mul_lo_u16_e32 v22, 0x96, v167
	v_fma_f64 v[76:77], v[82:83], v[20:21], -v[64:65]
	global_load_dwordx4 v[64:67], v66, s[8:9] offset:2256
	v_sub_u16_e32 v168, v130, v22
	v_lshlrev_b32_e32 v86, 5, v168
	global_load_dwordx4 v[172:175], v86, s[8:9] offset:2240
	global_load_dwordx4 v[176:179], v86, s[8:9] offset:2256
	v_fmac_f64_e32 v[78:79], v[84:85], v[20:21]
	v_mul_u32_u24_e32 v84, 0xda75, v100
	v_lshrrev_b32_e32 v84, 22, v84
	v_mul_lo_u16_e32 v84, 0x96, v84
	v_sub_u16_e32 v169, v128, v84
	ds_read_b128 v[20:23], v160 offset:25920
	s_waitcnt vmcnt(15) lgkmcnt(1)
	v_mul_f64 v[82:83], v[90:91], v[18:19]
	v_lshlrev_b32_e32 v86, 5, v169
	v_fma_f64 v[82:83], v[88:89], v[16:17], -v[82:83]
	global_load_dwordx4 v[180:183], v86, s[8:9] offset:2240
	v_mul_f64 v[88:89], v[88:89], v[18:19]
	v_fmac_f64_e32 v[88:89], v[90:91], v[16:17]
	global_load_dwordx4 v[16:19], v86, s[8:9] offset:2256
	s_waitcnt vmcnt(16)
	v_mul_f64 v[84:85], v[96:97], v[14:15]
	v_mul_f64 v[98:99], v[94:95], v[14:15]
	v_fma_f64 v[92:93], v[94:95], v[12:13], -v[84:85]
	v_fmac_f64_e32 v[98:99], v[96:97], v[12:13]
	ds_read_b128 v[12:15], v160 offset:47520
	s_waitcnt vmcnt(15) lgkmcnt(1)
	v_mul_f64 v[84:85], v[22:23], v[38:39]
	v_mul_f64 v[86:87], v[20:21], v[38:39]
	v_fma_f64 v[84:85], v[20:21], v[36:37], -v[84:85]
	v_fmac_f64_e32 v[86:87], v[22:23], v[36:37]
	ds_read_b128 v[20:23], v160 offset:49680
	ds_read_b128 v[36:39], v160 offset:28080
	s_waitcnt vmcnt(14) lgkmcnt(2)
	v_mul_f64 v[90:91], v[14:15], v[26:27]
	v_mul_f64 v[104:105], v[12:13], v[26:27]
	v_fma_f64 v[100:101], v[12:13], v[24:25], -v[90:91]
	v_fmac_f64_e32 v[104:105], v[14:15], v[24:25]
	ds_read_b128 v[12:15], v160 offset:30240
	s_waitcnt vmcnt(13) lgkmcnt(1)
	v_mul_f64 v[24:25], v[38:39], v[46:47]
	v_fma_f64 v[90:91], v[36:37], v[44:45], -v[24:25]
	s_waitcnt vmcnt(12)
	v_mul_f64 v[24:25], v[22:23], v[42:43]
	v_mul_f64 v[102:103], v[20:21], v[42:43]
	;; [unrolled: 1-line block ×3, first 2 shown]
	v_fma_f64 v[96:97], v[20:21], v[40:41], -v[24:25]
	v_fmac_f64_e32 v[102:103], v[22:23], v[40:41]
	s_waitcnt vmcnt(11) lgkmcnt(0)
	v_mul_f64 v[24:25], v[14:15], v[62:63]
	ds_read_b128 v[20:23], v160 offset:51840
	v_fmac_f64_e32 v[94:95], v[38:39], v[44:45]
	v_fma_f64 v[44:45], v[12:13], v[60:61], -v[24:25]
	v_mul_f64 v[46:47], v[12:13], v[62:63]
	ds_read_b128 v[24:27], v160 offset:32400
	v_fmac_f64_e32 v[46:47], v[14:15], v[60:61]
	ds_read_b128 v[12:15], v160 offset:54000
	s_waitcnt vmcnt(10) lgkmcnt(2)
	v_mul_f64 v[36:37], v[22:23], v[58:59]
	v_mul_f64 v[58:59], v[20:21], v[58:59]
	v_fma_f64 v[60:61], v[20:21], v[56:57], -v[36:37]
	v_fmac_f64_e32 v[58:59], v[22:23], v[56:57]
	ds_read_b128 v[20:23], v161
	s_waitcnt vmcnt(9) lgkmcnt(2)
	v_mul_f64 v[36:37], v[26:27], v[34:35]
	v_mul_f64 v[118:119], v[24:25], v[34:35]
	v_fma_f64 v[110:111], v[24:25], v[32:33], -v[36:37]
	v_fmac_f64_e32 v[118:119], v[26:27], v[32:33]
	ds_read_b128 v[24:27], v160 offset:34560
	s_waitcnt vmcnt(5) lgkmcnt(2)
	v_mul_f64 v[32:33], v[14:15], v[30:31]
	v_mul_f64 v[150:151], v[12:13], v[30:31]
	v_fma_f64 v[146:147], v[12:13], v[28:29], -v[32:33]
	v_fmac_f64_e32 v[150:151], v[14:15], v[28:29]
	ds_read_b128 v[12:15], v160 offset:36720
	ds_read_b128 v[28:31], v160 offset:56160
	s_waitcnt lgkmcnt(2)
	v_mul_f64 v[32:33], v[26:27], v[54:55]
	v_mul_f64 v[112:113], v[24:25], v[54:55]
	v_fma_f64 v[106:107], v[24:25], v[52:53], -v[32:33]
	v_fmac_f64_e32 v[112:113], v[26:27], v[52:53]
	ds_read_b128 v[24:27], v160 offset:58320
	s_waitcnt lgkmcnt(1)
	v_mul_f64 v[32:33], v[30:31], v[50:51]
	v_fma_f64 v[116:117], v[28:29], v[48:49], -v[32:33]
	v_mul_f64 v[148:149], v[28:29], v[50:51]
	v_mul_f64 v[28:29], v[14:15], v[70:71]
	;; [unrolled: 1-line block ×3, first 2 shown]
	v_fma_f64 v[62:63], v[12:13], v[68:69], -v[28:29]
	v_fmac_f64_e32 v[70:71], v[14:15], v[68:69]
	ds_read_b128 v[12:15], v160 offset:38880
	s_waitcnt vmcnt(4) lgkmcnt(1)
	v_mul_f64 v[28:29], v[26:27], v[66:67]
	v_fmac_f64_e32 v[148:149], v[30:31], v[48:49]
	v_fma_f64 v[68:69], v[24:25], v[64:65], -v[28:29]
	v_mul_f64 v[114:115], v[24:25], v[66:67]
	ds_read_b128 v[28:31], v160 offset:60480
	v_fmac_f64_e32 v[114:115], v[26:27], v[64:65]
	ds_read_b128 v[24:27], v160 offset:41040
	s_waitcnt vmcnt(3) lgkmcnt(2)
	v_mul_f64 v[32:33], v[14:15], v[174:175]
	v_mul_f64 v[64:65], v[12:13], v[174:175]
	v_fma_f64 v[54:55], v[12:13], v[172:173], -v[32:33]
	v_fmac_f64_e32 v[64:65], v[14:15], v[172:173]
	ds_read_b128 v[12:15], v160 offset:62640
	s_waitcnt vmcnt(2) lgkmcnt(2)
	v_mul_f64 v[32:33], v[30:31], v[178:179]
	v_fma_f64 v[66:67], v[28:29], v[176:177], -v[32:33]
	v_mul_f64 v[108:109], v[28:29], v[178:179]
	s_waitcnt vmcnt(1) lgkmcnt(1)
	v_mul_f64 v[28:29], v[26:27], v[182:183]
	v_fma_f64 v[48:49], v[24:25], v[180:181], -v[28:29]
	v_mul_f64 v[50:51], v[24:25], v[182:183]
	;; [unrolled: 4-line block ×3, first 2 shown]
	v_add_f64 v[12:13], v[8:9], v[72:73]
	v_add_f64 v[40:41], v[12:13], v[76:77]
	v_add_f64 v[12:13], v[10:11], v[74:75]
	v_add_f64 v[42:43], v[12:13], v[78:79]
	v_fmac_f64_e32 v[108:109], v[30:31], v[176:177]
	v_fmac_f64_e32 v[50:51], v[26:27], v[180:181]
	;; [unrolled: 1-line block ×3, first 2 shown]
	ds_read_b128 v[36:39], v133
	ds_read_b128 v[32:35], v163
	;; [unrolled: 1-line block ×6, first 2 shown]
	s_waitcnt lgkmcnt(0)
	s_barrier
	ds_write_b128 v160, v[40:43]
	v_add_f64 v[40:41], v[72:73], v[76:77]
	v_fmac_f64_e32 v[8:9], -0.5, v[40:41]
	v_add_f64 v[40:41], v[74:75], v[78:79]
	v_add_f64 v[172:173], v[74:75], -v[78:79]
	v_fmac_f64_e32 v[10:11], -0.5, v[40:41]
	v_add_f64 v[72:73], v[72:73], -v[76:77]
	v_fma_f64 v[40:41], s[4:5], v[172:173], v[8:9]
	v_fma_f64 v[42:43], s[10:11], v[72:73], v[10:11]
	ds_write_b128 v160, v[40:43] offset:2400
	v_fmac_f64_e32 v[8:9], s[10:11], v[172:173]
	v_fmac_f64_e32 v[10:11], s[4:5], v[72:73]
	v_mov_b32_e32 v40, 0x1c20
	ds_write_b128 v160, v[8:11] offset:4800
	v_add_f64 v[8:9], v[4:5], v[82:83]
	v_add_f64 v[10:11], v[6:7], v[88:89]
	v_cndmask_b32_e32 v40, 0, v40, vcc
	v_lshlrev_b32_e32 v41, 4, v170
	v_add_f64 v[8:9], v[8:9], v[92:93]
	v_add_f64 v[10:11], v[10:11], v[98:99]
	v_add3_u32 v178, 0, v40, v41
	ds_write_b128 v178, v[8:11]
	v_add_f64 v[8:9], v[82:83], v[92:93]
	v_fmac_f64_e32 v[4:5], -0.5, v[8:9]
	v_add_f64 v[8:9], v[88:89], -v[98:99]
	v_fma_f64 v[72:73], s[4:5], v[8:9], v[4:5]
	v_fmac_f64_e32 v[4:5], s[10:11], v[8:9]
	v_add_f64 v[8:9], v[88:89], v[98:99]
	v_fmac_f64_e32 v[6:7], -0.5, v[8:9]
	v_add_f64 v[8:9], v[82:83], -v[92:93]
	v_fma_f64 v[74:75], s[10:11], v[8:9], v[6:7]
	v_fmac_f64_e32 v[6:7], s[4:5], v[8:9]
	v_add_f64 v[8:9], v[0:1], v[84:85]
	v_add_f64 v[170:171], v[8:9], v[100:101]
	;; [unrolled: 1-line block ×5, first 2 shown]
	v_fmac_f64_e32 v[2:3], -0.5, v[8:9]
	v_add_f64 v[8:9], v[84:85], -v[100:101]
	v_add_f64 v[10:11], v[84:85], v[100:101]
	v_fma_f64 v[78:79], s[10:11], v[8:9], v[2:3]
	v_fmac_f64_e32 v[2:3], s[4:5], v[8:9]
	v_add_f64 v[8:9], v[36:37], v[90:91]
	v_fmac_f64_e32 v[0:1], -0.5, v[10:11]
	v_add_f64 v[10:11], v[86:87], -v[104:105]
	v_add_f64 v[86:87], v[8:9], v[96:97]
	v_add_f64 v[8:9], v[38:39], v[94:95]
	;; [unrolled: 1-line block ×4, first 2 shown]
	v_fmac_f64_e32 v[38:39], -0.5, v[8:9]
	v_add_f64 v[8:9], v[90:91], -v[96:97]
	v_fma_f64 v[76:77], s[4:5], v[10:11], v[0:1]
	v_fmac_f64_e32 v[0:1], s[10:11], v[10:11]
	v_add_f64 v[10:11], v[90:91], v[96:97]
	v_fma_f64 v[84:85], s[10:11], v[8:9], v[38:39]
	v_fmac_f64_e32 v[38:39], s[4:5], v[8:9]
	v_add_f64 v[8:9], v[32:33], v[44:45]
	v_fmac_f64_e32 v[36:37], -0.5, v[10:11]
	v_add_f64 v[10:11], v[94:95], -v[102:103]
	v_add_f64 v[94:95], v[8:9], v[60:61]
	v_add_f64 v[8:9], v[34:35], v[46:47]
	v_add_f64 v[96:97], v[8:9], v[58:59]
	v_add_f64 v[8:9], v[46:47], v[58:59]
	v_fmac_f64_e32 v[34:35], -0.5, v[8:9]
	v_add_f64 v[8:9], v[44:45], -v[60:61]
	v_fma_f64 v[92:93], s[10:11], v[8:9], v[34:35]
	v_fmac_f64_e32 v[34:35], s[4:5], v[8:9]
	v_add_f64 v[8:9], v[28:29], v[110:111]
	v_add_f64 v[98:99], v[8:9], v[146:147]
	v_add_f64 v[8:9], v[30:31], v[118:119]
	v_add_f64 v[100:101], v[8:9], v[150:151]
	v_add_f64 v[8:9], v[118:119], v[150:151]
	v_fmac_f64_e32 v[30:31], -0.5, v[8:9]
	v_add_f64 v[8:9], v[110:111], -v[146:147]
	v_fma_f64 v[82:83], s[4:5], v[10:11], v[36:37]
	v_fmac_f64_e32 v[36:37], s[10:11], v[10:11]
	v_add_f64 v[10:11], v[44:45], v[60:61]
	v_fma_f64 v[60:61], s[10:11], v[8:9], v[30:31]
	v_fmac_f64_e32 v[30:31], s[4:5], v[8:9]
	v_add_f64 v[8:9], v[20:21], v[106:107]
	ds_write_b128 v178, v[72:75] offset:2400
	ds_write_b128 v178, v[4:7] offset:4800
	v_mul_u32_u24_e32 v4, 0x1c20, v139
	v_lshlrev_b32_e32 v5, 4, v141
	v_add_f64 v[174:175], v[8:9], v[116:117]
	v_add_f64 v[8:9], v[22:23], v[112:113]
	v_add3_u32 v4, 0, v4, v5
	v_fmac_f64_e32 v[32:33], -0.5, v[10:11]
	v_add_f64 v[10:11], v[46:47], -v[58:59]
	v_add_f64 v[176:177], v[8:9], v[148:149]
	v_add_f64 v[8:9], v[112:113], v[148:149]
	ds_write_b128 v4, v[170:173]
	ds_write_b128 v4, v[76:79] offset:2400
	ds_write_b128 v4, v[0:3] offset:4800
	v_perm_b32 v0, v143, v166, s13
	v_fma_f64 v[90:91], s[4:5], v[10:11], v[32:33]
	v_fmac_f64_e32 v[32:33], s[10:11], v[10:11]
	v_add_f64 v[10:11], v[110:111], v[146:147]
	v_fmac_f64_e32 v[22:23], -0.5, v[8:9]
	v_add_f64 v[8:9], v[106:107], -v[116:117]
	v_pk_mul_lo_u16 v0, v0, s12 op_sel_hi:[1,0]
	v_fmac_f64_e32 v[28:29], -0.5, v[10:11]
	v_add_f64 v[10:11], v[118:119], -v[150:151]
	v_fma_f64 v[104:105], s[10:11], v[8:9], v[22:23]
	v_fmac_f64_e32 v[22:23], s[4:5], v[8:9]
	v_add_f64 v[8:9], v[24:25], v[62:63]
	v_lshrrev_b32_e32 v1, 16, v0
	v_lshlrev_b32_e32 v2, 4, v135
	v_fma_f64 v[58:59], s[4:5], v[10:11], v[28:29]
	v_fmac_f64_e32 v[28:29], s[10:11], v[10:11]
	v_add_f64 v[10:11], v[106:107], v[116:117]
	v_add_f64 v[116:117], v[8:9], v[68:69]
	;; [unrolled: 1-line block ×3, first 2 shown]
	v_add3_u32 v1, 0, v1, v2
	v_add_f64 v[118:119], v[8:9], v[114:115]
	v_add_f64 v[8:9], v[70:71], v[114:115]
	ds_write_b128 v1, v[86:89]
	ds_write_b128 v1, v[82:85] offset:2400
	ds_write_b128 v1, v[36:39] offset:4800
	v_and_b32_e32 v0, 0xffe0, v0
	v_lshlrev_b32_e32 v1, 4, v152
	v_fmac_f64_e32 v[26:27], -0.5, v[8:9]
	v_add_f64 v[8:9], v[62:63], -v[68:69]
	v_add3_u32 v0, 0, v0, v1
	v_fmac_f64_e32 v[20:21], -0.5, v[10:11]
	v_add_f64 v[10:11], v[112:113], -v[148:149]
	v_fma_f64 v[112:113], s[10:11], v[8:9], v[26:27]
	v_fmac_f64_e32 v[26:27], s[4:5], v[8:9]
	v_add_f64 v[8:9], v[16:17], v[54:55]
	ds_write_b128 v0, v[94:97]
	ds_write_b128 v0, v[90:93] offset:2400
	ds_write_b128 v0, v[32:35] offset:4800
	v_mul_u32_u24_e32 v0, 0x1c20, v153
	v_lshlrev_b32_e32 v1, 4, v154
	v_fma_f64 v[102:103], s[4:5], v[10:11], v[20:21]
	v_fmac_f64_e32 v[20:21], s[10:11], v[10:11]
	v_add_f64 v[10:11], v[62:63], v[68:69]
	v_add_f64 v[68:69], v[8:9], v[66:67]
	;; [unrolled: 1-line block ×3, first 2 shown]
	v_add3_u32 v0, 0, v0, v1
	v_fmac_f64_e32 v[24:25], -0.5, v[10:11]
	v_add_f64 v[10:11], v[70:71], -v[114:115]
	v_add_f64 v[70:71], v[8:9], v[108:109]
	v_add_f64 v[8:9], v[64:65], v[108:109]
	ds_write_b128 v0, v[98:101]
	ds_write_b128 v0, v[58:61] offset:2400
	ds_write_b128 v0, v[28:31] offset:4800
	v_mul_u32_u24_e32 v0, 0x1c20, v155
	v_lshlrev_b32_e32 v1, 4, v156
	v_fma_f64 v[110:111], s[4:5], v[10:11], v[24:25]
	v_fmac_f64_e32 v[24:25], s[10:11], v[10:11]
	v_add_f64 v[10:11], v[54:55], v[66:67]
	v_fmac_f64_e32 v[18:19], -0.5, v[8:9]
	v_add_f64 v[8:9], v[54:55], -v[66:67]
	v_add3_u32 v0, 0, v0, v1
	v_fmac_f64_e32 v[16:17], -0.5, v[10:11]
	v_add_f64 v[10:11], v[64:65], -v[108:109]
	v_fma_f64 v[42:43], s[10:11], v[8:9], v[18:19]
	v_fmac_f64_e32 v[18:19], s[4:5], v[8:9]
	v_add_f64 v[8:9], v[48:49], v[52:53]
	ds_write_b128 v0, v[174:177]
	ds_write_b128 v0, v[102:105] offset:2400
	ds_write_b128 v0, v[20:23] offset:4800
	v_mul_u32_u24_e32 v0, 0x1c20, v157
	v_lshlrev_b32_e32 v1, 4, v165
	v_fma_f64 v[40:41], s[4:5], v[10:11], v[16:17]
	v_fmac_f64_e32 v[16:17], s[10:11], v[10:11]
	v_add_f64 v[10:11], v[12:13], v[48:49]
	v_fmac_f64_e32 v[12:13], -0.5, v[8:9]
	v_add_f64 v[44:45], v[50:51], -v[56:57]
	v_add3_u32 v0, 0, v0, v1
	v_fma_f64 v[8:9], s[4:5], v[44:45], v[12:13]
	v_fmac_f64_e32 v[12:13], s[10:11], v[44:45]
	v_add_f64 v[44:45], v[10:11], v[52:53]
	v_add_f64 v[10:11], v[14:15], v[50:51]
	ds_write_b128 v0, v[116:119]
	ds_write_b128 v0, v[110:113] offset:2400
	ds_write_b128 v0, v[24:27] offset:4800
	v_mul_u32_u24_e32 v0, 0x1c20, v167
	v_lshlrev_b32_e32 v1, 4, v168
	v_add_f64 v[46:47], v[10:11], v[56:57]
	v_add_f64 v[10:11], v[50:51], v[56:57]
	v_add3_u32 v0, 0, v0, v1
	v_fmac_f64_e32 v[14:15], -0.5, v[10:11]
	v_add_f64 v[48:49], v[48:49], -v[52:53]
	ds_write_b128 v0, v[68:71]
	ds_write_b128 v0, v[40:43] offset:2400
	ds_write_b128 v0, v[16:19] offset:4800
	v_lshl_add_u32 v0, v169, 4, 0
	v_fma_f64 v[10:11], s[10:11], v[48:49], v[14:15]
	v_fmac_f64_e32 v[14:15], s[4:5], v[48:49]
	ds_write_b128 v0, v[44:47] offset:57600
	ds_write_b128 v0, v[8:11] offset:60000
	;; [unrolled: 1-line block ×3, first 2 shown]
	v_add_co_u32_e32 v0, vcc, s14, v80
	s_mov_b64 s[12:13], 0x1b80
	s_nop 0
	v_addc_co_u32_e32 v1, vcc, 0, v81, vcc
	s_waitcnt lgkmcnt(0)
	s_barrier
	global_load_dwordx4 v[28:31], v[0:1], off offset:2944
	v_lshl_add_u64 v[0:1], v[80:81], 0, s[12:13]
	global_load_dwordx4 v[32:35], v[0:1], off offset:16
	v_lshlrev_b32_e32 v0, 1, v126
	v_mov_b32_e32 v1, v145
	v_lshl_add_u64 v[82:83], v[0:1], 4, s[8:9]
	v_add_co_u32_e32 v0, vcc, s14, v82
	v_mul_u32_u24_sdwa v139, v136, s16 dst_sel:DWORD dst_unused:UNUSED_PAD src0_sel:WORD_0 src1_sel:DWORD
	s_nop 0
	v_addc_co_u32_e32 v1, vcc, 0, v83, vcc
	global_load_dwordx4 v[20:23], v[0:1], off offset:2944
	ds_read_b128 v[8:11], v160
	ds_read_b128 v[36:39], v160 offset:21600
	ds_read_b128 v[40:43], v160 offset:43200
	;; [unrolled: 1-line block ×3, first 2 shown]
	ds_read_b128 v[4:7], v127
	ds_read_b128 v[0:3], v137
	ds_read_b128 v[24:27], v160 offset:23760
	ds_read_b128 v[12:15], v160 offset:25920
	v_mul_u32_u24_sdwa v96, v130, s16 dst_sel:DWORD dst_unused:UNUSED_PAD src0_sel:WORD_0 src1_sel:DWORD
	v_mul_lo_u16_sdwa v96, v96, s15 dst_sel:DWORD dst_unused:UNUSED_PAD src0_sel:BYTE_3 src1_sel:DWORD
	v_sub_u16_e32 v165, v130, v96
	s_waitcnt vmcnt(2) lgkmcnt(6)
	v_mul_f64 v[44:45], v[38:39], v[30:31]
	v_mul_f64 v[90:91], v[36:37], v[30:31]
	v_fma_f64 v[88:89], v[36:37], v[28:29], -v[44:45]
	v_fmac_f64_e32 v[90:91], v[38:39], v[28:29]
	s_waitcnt vmcnt(1) lgkmcnt(5)
	v_mul_f64 v[28:29], v[42:43], v[34:35]
	v_mul_f64 v[94:95], v[40:41], v[34:35]
	v_fma_f64 v[92:93], v[40:41], v[32:33], -v[28:29]
	v_fmac_f64_e32 v[94:95], v[42:43], v[32:33]
	v_lshl_add_u64 v[28:29], v[82:83], 0, s[12:13]
	global_load_dwordx4 v[28:31], v[28:29], off offset:16
	s_waitcnt vmcnt(1) lgkmcnt(1)
	v_mul_f64 v[32:33], v[26:27], v[22:23]
	v_fma_f64 v[86:87], v[24:25], v[20:21], -v[32:33]
	v_lshlrev_b32_e32 v32, 1, v142
	v_mov_b32_e32 v33, v145
	v_lshl_add_u64 v[84:85], v[32:33], 4, s[8:9]
	v_add_co_u32_e32 v42, vcc, s14, v84
	v_lshl_add_u64 v[40:41], v[84:85], 0, s[12:13]
	s_nop 0
	v_addc_co_u32_e32 v43, vcc, 0, v85, vcc
	global_load_dwordx4 v[36:39], v[42:43], off offset:2944
	global_load_dwordx4 v[32:35], v[40:41], off offset:16
	v_subrev_u32_e32 v40, 45, v122
	v_cmp_gt_u32_e32 vcc, 45, v122
	v_mov_b32_e32 v41, v145
	s_waitcnt vmcnt(2)
	v_mul_f64 v[110:111], v[16:17], v[30:31]
	v_cndmask_b32_e32 v135, v40, v140, vcc
	v_lshlrev_b32_e32 v40, 1, v135
	v_lshl_add_u64 v[40:41], v[40:41], 4, s[8:9]
	v_lshl_add_u64 v[42:43], v[40:41], 0, s[12:13]
	v_add_co_u32_e32 v40, vcc, s14, v40
	v_fmac_f64_e32 v[110:111], v[18:19], v[28:29]
	s_nop 0
	v_addc_co_u32_e32 v41, vcc, 0, v41, vcc
	global_load_dwordx4 v[48:51], v[40:41], off offset:2944
	global_load_dwordx4 v[52:55], v[42:43], off offset:16
	v_add_u32_e32 v40, 0xb4, v144
	v_mov_b32_e32 v41, v145
	v_lshl_add_u64 v[40:41], v[40:41], 4, s[8:9]
	v_lshl_add_u64 v[42:43], v[40:41], 0, s[12:13]
	v_add_co_u32_e32 v40, vcc, s14, v40
	v_add_u32_e32 v144, 0x1c2, v144
	s_nop 0
	v_addc_co_u32_e32 v41, vcc, 0, v41, vcc
	global_load_dwordx4 v[68:71], v[40:41], off offset:2944
	global_load_dwordx4 v[64:67], v[42:43], off offset:16
	v_lshl_add_u64 v[40:41], v[144:145], 4, s[8:9]
	v_add_co_u32_e32 v58, vcc, s14, v40
	v_lshl_add_u64 v[56:57], v[40:41], 0, s[12:13]
	s_nop 0
	v_addc_co_u32_e32 v59, vcc, 0, v41, vcc
	global_load_dwordx4 v[40:43], v[58:59], off offset:2944
	global_load_dwordx4 v[44:47], v[56:57], off offset:16
	v_mul_lo_u16_sdwa v56, v139, s15 dst_sel:DWORD dst_unused:UNUSED_PAD src0_sel:BYTE_3 src1_sel:DWORD
	v_sub_u16_e32 v141, v136, v56
	v_lshlrev_b32_e32 v144, 5, v141
	v_lshl_add_u64 v[56:57], s[8:9], 0, v[144:145]
	v_add_co_u32_e32 v74, vcc, s14, v56
	v_lshl_add_u64 v[72:73], v[56:57], 0, s[12:13]
	s_nop 0
	v_addc_co_u32_e32 v75, vcc, 0, v57, vcc
	global_load_dwordx4 v[56:59], v[74:75], off offset:2944
	global_load_dwordx4 v[60:63], v[72:73], off offset:16
	v_mul_u32_u24_sdwa v72, v132, s16 dst_sel:DWORD dst_unused:UNUSED_PAD src0_sel:WORD_0 src1_sel:DWORD
	v_mul_lo_u16_sdwa v72, v72, s15 dst_sel:DWORD dst_unused:UNUSED_PAD src0_sel:BYTE_3 src1_sel:DWORD
	v_sub_u16_e32 v143, v132, v72
	v_lshlrev_b32_e32 v144, 5, v143
	v_lshl_add_u64 v[72:73], s[8:9], 0, v[144:145]
	v_lshl_add_u64 v[76:77], v[72:73], 0, s[12:13]
	v_add_co_u32_e32 v72, vcc, s14, v72
	v_lshlrev_b32_e32 v144, 5, v165
	s_nop 0
	v_addc_co_u32_e32 v73, vcc, 0, v73, vcc
	global_load_dwordx4 v[72:75], v[72:73], off offset:2944
	s_nop 0
	global_load_dwordx4 v[76:79], v[76:77], off offset:16
	v_lshl_add_u64 v[96:97], s[8:9], 0, v[144:145]
	v_lshl_add_u64 v[98:99], v[96:97], 0, s[12:13]
	v_add_co_u32_e32 v96, vcc, s14, v96
	s_nop 1
	v_addc_co_u32_e32 v97, vcc, 0, v97, vcc
	global_load_dwordx4 v[168:171], v[96:97], off offset:2944
	global_load_dwordx4 v[172:175], v[98:99], off offset:16
	v_mul_u32_u24_sdwa v96, v128, s16 dst_sel:DWORD dst_unused:UNUSED_PAD src0_sel:WORD_0 src1_sel:DWORD
	v_mul_lo_u16_sdwa v96, v96, s15 dst_sel:DWORD dst_unused:UNUSED_PAD src0_sel:BYTE_3 src1_sel:DWORD
	v_sub_u16_e32 v166, v128, v96
	v_lshlrev_b32_e32 v144, 5, v166
	v_lshl_add_u64 v[98:99], s[8:9], 0, v[144:145]
	v_add_co_u32_e32 v100, vcc, s14, v98
	v_mul_f64 v[96:97], v[24:25], v[22:23]
	s_nop 0
	v_addc_co_u32_e32 v101, vcc, 0, v99, vcc
	global_load_dwordx4 v[176:179], v[100:101], off offset:2944
	v_lshl_add_u64 v[22:23], v[98:99], 0, s[12:13]
	v_fmac_f64_e32 v[96:97], v[26:27], v[20:21]
	global_load_dwordx4 v[24:27], v[22:23], off offset:16
	v_mul_f64 v[20:21], v[18:19], v[30:31]
	v_fma_f64 v[104:105], v[16:17], v[28:29], -v[20:21]
	ds_read_b128 v[16:19], v160 offset:47520
	s_waitcnt vmcnt(15) lgkmcnt(1)
	v_mul_f64 v[20:21], v[14:15], v[38:39]
	v_fma_f64 v[98:99], v[12:13], v[36:37], -v[20:21]
	v_mul_f64 v[100:101], v[12:13], v[38:39]
	ds_read_b128 v[20:23], v160 offset:28080
	v_fmac_f64_e32 v[100:101], v[14:15], v[36:37]
	ds_read_b128 v[12:15], v160 offset:49680
	s_waitcnt vmcnt(14) lgkmcnt(2)
	v_mul_f64 v[28:29], v[18:19], v[34:35]
	v_mul_f64 v[114:115], v[16:17], v[34:35]
	v_fma_f64 v[112:113], v[16:17], v[32:33], -v[28:29]
	v_fmac_f64_e32 v[114:115], v[18:19], v[32:33]
	ds_read_b128 v[16:19], v160 offset:30240
	v_cmp_lt_u32_e32 vcc, 44, v122
	s_movk_i32 s12, 0x5460
	s_movk_i32 s14, 0x5000
	s_waitcnt vmcnt(13) lgkmcnt(2)
	v_mul_f64 v[28:29], v[22:23], v[50:51]
	v_fma_f64 v[102:103], v[20:21], v[48:49], -v[28:29]
	v_mul_f64 v[106:107], v[20:21], v[50:51]
	s_waitcnt vmcnt(12) lgkmcnt(1)
	v_mul_f64 v[20:21], v[14:15], v[54:55]
	v_mul_f64 v[54:55], v[12:13], v[54:55]
	v_fma_f64 v[108:109], v[12:13], v[52:53], -v[20:21]
	v_fmac_f64_e32 v[54:55], v[14:15], v[52:53]
	ds_read_b128 v[12:15], v160 offset:51840
	ds_read_b128 v[28:31], v160 offset:32400
	v_fmac_f64_e32 v[106:107], v[22:23], v[48:49]
	s_waitcnt vmcnt(11) lgkmcnt(2)
	v_mul_f64 v[20:21], v[18:19], v[70:71]
	v_mul_f64 v[50:51], v[16:17], v[70:71]
	v_fma_f64 v[48:49], v[16:17], v[68:69], -v[20:21]
	v_fmac_f64_e32 v[50:51], v[18:19], v[68:69]
	ds_read_b128 v[16:19], v160 offset:54000
	s_waitcnt vmcnt(10) lgkmcnt(2)
	v_mul_f64 v[20:21], v[14:15], v[66:67]
	v_fma_f64 v[52:53], v[12:13], v[64:65], -v[20:21]
	ds_read_b128 v[20:23], v161
	v_mul_f64 v[66:67], v[12:13], v[66:67]
	s_waitcnt vmcnt(9) lgkmcnt(2)
	v_mul_f64 v[12:13], v[30:31], v[42:43]
	v_fmac_f64_e32 v[66:67], v[14:15], v[64:65]
	v_fma_f64 v[118:119], v[28:29], v[40:41], -v[12:13]
	v_mul_f64 v[150:151], v[28:29], v[42:43]
	s_waitcnt vmcnt(8) lgkmcnt(1)
	v_mul_f64 v[28:29], v[18:19], v[46:47]
	ds_read_b128 v[12:15], v160 offset:34560
	v_fmac_f64_e32 v[150:151], v[30:31], v[40:41]
	v_fma_f64 v[152:153], v[16:17], v[44:45], -v[28:29]
	v_mul_f64 v[156:157], v[16:17], v[46:47]
	ds_read_b128 v[28:31], v160 offset:56160
	v_fmac_f64_e32 v[156:157], v[18:19], v[44:45]
	ds_read_b128 v[16:19], v160 offset:36720
	s_waitcnt vmcnt(7) lgkmcnt(2)
	v_mul_f64 v[32:33], v[14:15], v[58:59]
	v_mul_f64 v[146:147], v[12:13], v[58:59]
	v_fma_f64 v[116:117], v[12:13], v[56:57], -v[32:33]
	v_fmac_f64_e32 v[146:147], v[14:15], v[56:57]
	ds_read_b128 v[12:15], v160 offset:58320
	s_waitcnt vmcnt(6) lgkmcnt(2)
	v_mul_f64 v[32:33], v[30:31], v[62:63]
	v_fma_f64 v[148:149], v[28:29], v[60:61], -v[32:33]
	v_mul_f64 v[154:155], v[28:29], v[62:63]
	s_waitcnt vmcnt(5) lgkmcnt(1)
	v_mul_f64 v[28:29], v[18:19], v[74:75]
	v_mul_f64 v[70:71], v[16:17], v[74:75]
	v_fma_f64 v[44:45], v[16:17], v[72:73], -v[28:29]
	v_fmac_f64_e32 v[70:71], v[18:19], v[72:73]
	ds_read_b128 v[16:19], v160 offset:38880
	s_waitcnt vmcnt(4) lgkmcnt(1)
	v_mul_f64 v[28:29], v[14:15], v[78:79]
	v_fmac_f64_e32 v[154:155], v[30:31], v[60:61]
	v_fma_f64 v[72:73], v[12:13], v[76:77], -v[28:29]
	v_mul_f64 v[78:79], v[12:13], v[78:79]
	ds_read_b128 v[28:31], v160 offset:60480
	v_fmac_f64_e32 v[78:79], v[14:15], v[76:77]
	ds_read_b128 v[12:15], v160 offset:41040
	s_waitcnt vmcnt(3) lgkmcnt(2)
	v_mul_f64 v[32:33], v[18:19], v[170:171]
	v_mul_f64 v[62:63], v[16:17], v[170:171]
	v_fma_f64 v[46:47], v[16:17], v[168:169], -v[32:33]
	v_fmac_f64_e32 v[62:63], v[18:19], v[168:169]
	ds_read_b128 v[16:19], v160 offset:62640
	s_waitcnt vmcnt(2) lgkmcnt(2)
	v_mul_f64 v[32:33], v[30:31], v[174:175]
	v_fma_f64 v[68:69], v[28:29], v[172:173], -v[32:33]
	v_mul_f64 v[74:75], v[28:29], v[174:175]
	s_waitcnt vmcnt(1) lgkmcnt(1)
	v_mul_f64 v[28:29], v[14:15], v[178:179]
	v_fma_f64 v[56:57], v[12:13], v[176:177], -v[28:29]
	v_mul_f64 v[58:59], v[12:13], v[178:179]
	s_waitcnt vmcnt(0) lgkmcnt(0)
	v_mul_f64 v[12:13], v[18:19], v[26:27]
	v_fma_f64 v[60:61], v[16:17], v[24:25], -v[12:13]
	v_add_f64 v[12:13], v[8:9], v[88:89]
	v_add_f64 v[40:41], v[12:13], v[92:93]
	;; [unrolled: 1-line block ×3, first 2 shown]
	v_mul_f64 v[64:65], v[16:17], v[26:27]
	v_add_f64 v[42:43], v[12:13], v[94:95]
	v_fmac_f64_e32 v[74:75], v[30:31], v[172:173]
	v_fmac_f64_e32 v[58:59], v[14:15], v[176:177]
	ds_read_b128 v[36:39], v133
	ds_read_b128 v[32:35], v163
	v_fmac_f64_e32 v[64:65], v[18:19], v[24:25]
	ds_read_b128 v[28:31], v162
	ds_read_b128 v[24:27], v164
	;; [unrolled: 1-line block ×4, first 2 shown]
	s_waitcnt lgkmcnt(0)
	s_barrier
	ds_write_b128 v160, v[40:43]
	v_add_f64 v[40:41], v[88:89], v[92:93]
	v_fmac_f64_e32 v[8:9], -0.5, v[40:41]
	v_add_f64 v[40:41], v[90:91], v[94:95]
	v_add_f64 v[76:77], v[90:91], -v[94:95]
	v_fmac_f64_e32 v[10:11], -0.5, v[40:41]
	v_add_f64 v[88:89], v[88:89], -v[92:93]
	v_fma_f64 v[40:41], s[4:5], v[76:77], v[8:9]
	v_fma_f64 v[42:43], s[10:11], v[88:89], v[10:11]
	v_fmac_f64_e32 v[8:9], s[10:11], v[76:77]
	v_fmac_f64_e32 v[10:11], s[4:5], v[88:89]
	ds_write_b128 v160, v[8:11] offset:14400
	v_add_f64 v[8:9], v[4:5], v[86:87]
	v_add_f64 v[92:93], v[8:9], v[104:105]
	;; [unrolled: 1-line block ×5, first 2 shown]
	v_fmac_f64_e32 v[6:7], -0.5, v[8:9]
	v_add_f64 v[8:9], v[86:87], -v[104:105]
	v_fma_f64 v[90:91], s[10:11], v[8:9], v[6:7]
	v_fmac_f64_e32 v[6:7], s[4:5], v[8:9]
	v_add_f64 v[8:9], v[0:1], v[98:99]
	v_add_f64 v[168:169], v[8:9], v[112:113]
	v_add_f64 v[8:9], v[2:3], v[100:101]
	v_add_f64 v[10:11], v[86:87], v[104:105]
	v_add_f64 v[170:171], v[8:9], v[114:115]
	v_add_f64 v[8:9], v[100:101], v[114:115]
	v_fmac_f64_e32 v[4:5], -0.5, v[10:11]
	v_add_f64 v[10:11], v[96:97], -v[110:111]
	v_fmac_f64_e32 v[2:3], -0.5, v[8:9]
	v_add_f64 v[8:9], v[98:99], -v[112:113]
	v_fma_f64 v[88:89], s[4:5], v[10:11], v[4:5]
	v_fmac_f64_e32 v[4:5], s[10:11], v[10:11]
	v_add_f64 v[10:11], v[98:99], v[112:113]
	v_fma_f64 v[98:99], s[10:11], v[8:9], v[2:3]
	v_fmac_f64_e32 v[2:3], s[4:5], v[8:9]
	v_add_f64 v[8:9], v[36:37], v[102:103]
	v_add_f64 v[110:111], v[8:9], v[108:109]
	v_add_f64 v[8:9], v[38:39], v[106:107]
	v_add_f64 v[112:113], v[8:9], v[54:55]
	v_add_f64 v[8:9], v[106:107], v[54:55]
	v_fmac_f64_e32 v[0:1], -0.5, v[10:11]
	v_add_f64 v[10:11], v[100:101], -v[114:115]
	v_fmac_f64_e32 v[38:39], -0.5, v[8:9]
	v_add_f64 v[8:9], v[102:103], -v[108:109]
	v_fma_f64 v[96:97], s[4:5], v[10:11], v[0:1]
	v_fmac_f64_e32 v[0:1], s[10:11], v[10:11]
	v_add_f64 v[10:11], v[102:103], v[108:109]
	v_fma_f64 v[102:103], s[10:11], v[8:9], v[38:39]
	v_fmac_f64_e32 v[38:39], s[4:5], v[8:9]
	v_add_f64 v[8:9], v[32:33], v[48:49]
	v_add_f64 v[172:173], v[8:9], v[52:53]
	v_add_f64 v[8:9], v[34:35], v[50:51]
	v_add_f64 v[174:175], v[8:9], v[66:67]
	v_add_f64 v[8:9], v[50:51], v[66:67]
	v_fmac_f64_e32 v[34:35], -0.5, v[8:9]
	v_add_f64 v[8:9], v[48:49], -v[52:53]
	v_fmac_f64_e32 v[36:37], -0.5, v[10:11]
	v_add_f64 v[10:11], v[106:107], -v[54:55]
	v_fma_f64 v[106:107], s[10:11], v[8:9], v[34:35]
	v_fmac_f64_e32 v[34:35], s[4:5], v[8:9]
	v_add_f64 v[8:9], v[28:29], v[118:119]
	v_fma_f64 v[100:101], s[4:5], v[10:11], v[36:37]
	v_fmac_f64_e32 v[36:37], s[10:11], v[10:11]
	v_add_f64 v[10:11], v[48:49], v[52:53]
	v_add_f64 v[52:53], v[8:9], v[152:153]
	v_add_f64 v[8:9], v[30:31], v[150:151]
	v_add_f64 v[54:55], v[8:9], v[156:157]
	v_add_f64 v[8:9], v[150:151], v[156:157]
	v_fmac_f64_e32 v[32:33], -0.5, v[10:11]
	v_add_f64 v[10:11], v[50:51], -v[66:67]
	v_fmac_f64_e32 v[30:31], -0.5, v[8:9]
	v_add_f64 v[8:9], v[118:119], -v[152:153]
	v_fma_f64 v[104:105], s[4:5], v[10:11], v[32:33]
	v_fmac_f64_e32 v[32:33], s[10:11], v[10:11]
	v_add_f64 v[10:11], v[118:119], v[152:153]
	v_fma_f64 v[50:51], s[10:11], v[8:9], v[30:31]
	v_fmac_f64_e32 v[30:31], s[4:5], v[8:9]
	v_add_f64 v[8:9], v[20:21], v[116:117]
	v_fmac_f64_e32 v[28:29], -0.5, v[10:11]
	v_add_f64 v[10:11], v[150:151], -v[156:157]
	v_add_f64 v[150:151], v[8:9], v[148:149]
	v_add_f64 v[8:9], v[22:23], v[146:147]
	v_add_f64 v[152:153], v[8:9], v[154:155]
	v_add_f64 v[8:9], v[146:147], v[154:155]
	v_fmac_f64_e32 v[22:23], -0.5, v[8:9]
	v_add_f64 v[8:9], v[116:117], -v[148:149]
	v_fma_f64 v[48:49], s[4:5], v[10:11], v[28:29]
	v_fmac_f64_e32 v[28:29], s[10:11], v[10:11]
	v_add_f64 v[10:11], v[116:117], v[148:149]
	v_fma_f64 v[116:117], s[10:11], v[8:9], v[22:23]
	v_fmac_f64_e32 v[22:23], s[4:5], v[8:9]
	v_add_f64 v[8:9], v[24:25], v[44:45]
	v_fmac_f64_e32 v[20:21], -0.5, v[10:11]
	v_add_f64 v[10:11], v[146:147], -v[154:155]
	v_add_f64 v[146:147], v[8:9], v[72:73]
	v_add_f64 v[8:9], v[26:27], v[70:71]
	;; [unrolled: 1-line block ×4, first 2 shown]
	v_fma_f64 v[114:115], s[4:5], v[10:11], v[20:21]
	v_fmac_f64_e32 v[20:21], s[10:11], v[10:11]
	v_add_f64 v[10:11], v[44:45], v[72:73]
	v_fmac_f64_e32 v[26:27], -0.5, v[8:9]
	v_add_f64 v[8:9], v[44:45], -v[72:73]
	v_fmac_f64_e32 v[24:25], -0.5, v[10:11]
	v_add_f64 v[10:11], v[70:71], -v[78:79]
	v_fma_f64 v[78:79], s[10:11], v[8:9], v[26:27]
	v_fmac_f64_e32 v[26:27], s[4:5], v[8:9]
	v_add_f64 v[8:9], v[16:17], v[46:47]
	ds_write_b128 v160, v[40:43] offset:7200
	v_add_f64 v[70:71], v[8:9], v[68:69]
	v_add_f64 v[8:9], v[18:19], v[62:63]
	ds_write_b128 v127, v[92:95]
	ds_write_b128 v127, v[88:91] offset:7200
	ds_write_b128 v127, v[4:7] offset:14400
	ds_write_b128 v137, v[168:171]
	ds_write_b128 v137, v[96:99] offset:7200
	ds_write_b128 v137, v[0:3] offset:14400
	v_mov_b32_e32 v0, 0x5460
	v_add_f64 v[72:73], v[8:9], v[74:75]
	v_add_f64 v[8:9], v[62:63], v[74:75]
	v_cndmask_b32_e32 v0, 0, v0, vcc
	v_lshlrev_b32_e32 v1, 4, v135
	v_fma_f64 v[76:77], s[4:5], v[10:11], v[24:25]
	v_fmac_f64_e32 v[24:25], s[10:11], v[10:11]
	v_add_f64 v[10:11], v[46:47], v[68:69]
	v_fmac_f64_e32 v[18:19], -0.5, v[8:9]
	v_add_f64 v[8:9], v[46:47], -v[68:69]
	v_add3_u32 v0, 0, v0, v1
	v_fmac_f64_e32 v[16:17], -0.5, v[10:11]
	v_add_f64 v[10:11], v[62:63], -v[74:75]
	v_fma_f64 v[46:47], s[10:11], v[8:9], v[18:19]
	v_fmac_f64_e32 v[18:19], s[4:5], v[8:9]
	v_add_f64 v[8:9], v[56:57], v[60:61]
	ds_write_b128 v0, v[110:113]
	ds_write_b128 v0, v[100:103] offset:7200
	ds_write_b128 v0, v[36:39] offset:14400
	;; [unrolled: 1-line block ×8, first 2 shown]
	v_mul_u32_u24_sdwa v0, v139, s12 dst_sel:DWORD dst_unused:UNUSED_PAD src0_sel:BYTE_3 src1_sel:DWORD
	v_lshlrev_b32_e32 v1, 4, v141
	v_fma_f64 v[44:45], s[4:5], v[10:11], v[16:17]
	v_fmac_f64_e32 v[16:17], s[10:11], v[10:11]
	v_add_f64 v[10:11], v[12:13], v[56:57]
	v_fmac_f64_e32 v[12:13], -0.5, v[8:9]
	v_add_f64 v[40:41], v[58:59], -v[64:65]
	v_add3_u32 v0, 0, v0, v1
	v_fma_f64 v[8:9], s[4:5], v[40:41], v[12:13]
	v_fmac_f64_e32 v[12:13], s[10:11], v[40:41]
	v_add_f64 v[40:41], v[10:11], v[60:61]
	v_add_f64 v[10:11], v[14:15], v[58:59]
	ds_write_b128 v0, v[150:153]
	ds_write_b128 v0, v[114:117] offset:7200
	ds_write_b128 v0, v[20:23] offset:14400
	v_lshl_add_u32 v0, v143, 4, 0
	v_add_f64 v[42:43], v[10:11], v[64:65]
	v_add_f64 v[10:11], v[58:59], v[64:65]
	ds_write_b128 v0, v[146:149] offset:43200
	ds_write_b128 v0, v[76:79] offset:50400
	;; [unrolled: 1-line block ×3, first 2 shown]
	v_lshl_add_u32 v0, v165, 4, 0
	v_fmac_f64_e32 v[14:15], -0.5, v[10:11]
	v_add_f64 v[56:57], v[56:57], -v[60:61]
	ds_write_b128 v0, v[70:73] offset:43200
	ds_write_b128 v0, v[44:47] offset:50400
	;; [unrolled: 1-line block ×3, first 2 shown]
	v_lshl_add_u32 v0, v166, 4, 0
	v_fma_f64 v[10:11], s[10:11], v[56:57], v[14:15]
	v_fmac_f64_e32 v[14:15], s[4:5], v[56:57]
	ds_write_b128 v0, v[40:43] offset:43200
	ds_write_b128 v0, v[8:11] offset:50400
	;; [unrolled: 1-line block ×3, first 2 shown]
	v_add_co_u32_e32 v0, vcc, s14, v80
	s_waitcnt lgkmcnt(0)
	s_nop 0
	v_addc_co_u32_e32 v1, vcc, 0, v81, vcc
	s_barrier
	global_load_dwordx4 v[40:43], v[0:1], off offset:960
	s_mov_b64 s[12:13], 0x53c0
	v_lshl_add_u64 v[0:1], v[80:81], 0, s[12:13]
	global_load_dwordx4 v[56:59], v[0:1], off offset:16
	v_add_co_u32_e32 v0, vcc, s14, v82
	v_lshl_add_u64 v[36:37], v[82:83], 0, s[12:13]
	s_nop 0
	v_addc_co_u32_e32 v1, vcc, 0, v83, vcc
	global_load_dwordx4 v[24:27], v[0:1], off offset:960
	ds_read_b128 v[8:11], v160
	ds_read_b128 v[44:47], v160 offset:21600
	ds_read_b128 v[74:77], v160 offset:43200
	;; [unrolled: 1-line block ×3, first 2 shown]
	ds_read_b128 v[4:7], v127
	ds_read_b128 v[0:3], v137
	ds_read_b128 v[32:35], v160 offset:23760
	ds_read_b128 v[28:31], v160 offset:25920
	;; [unrolled: 1-line block ×4, first 2 shown]
	global_load_dwordx4 v[36:39], v[36:37], off offset:16
	v_lshlrev_b32_e32 v144, 1, v140
	s_waitcnt vmcnt(3) lgkmcnt(8)
	v_mul_f64 v[48:49], v[46:47], v[42:43]
	v_mul_f64 v[70:71], v[44:45], v[42:43]
	v_add_co_u32_e32 v42, vcc, s14, v84
	v_fma_f64 v[68:69], v[44:45], v[40:41], -v[48:49]
	s_nop 0
	v_addc_co_u32_e32 v43, vcc, 0, v85, vcc
	v_fmac_f64_e32 v[70:71], v[46:47], v[40:41]
	global_load_dwordx4 v[40:43], v[42:43], off offset:960
	v_lshl_add_u64 v[44:45], v[84:85], 0, s[12:13]
	v_lshl_add_u64 v[48:49], v[144:145], 4, s[8:9]
	global_load_dwordx4 v[44:47], v[44:45], off offset:16
	v_add_co_u32_e32 v60, vcc, s14, v48
	v_lshlrev_b32_e32 v144, 1, v134
	s_nop 0
	v_addc_co_u32_e32 v61, vcc, 0, v49, vcc
	v_lshl_add_u64 v[64:65], v[144:145], 4, s[8:9]
	v_lshl_add_u64 v[62:63], v[48:49], 0, s[12:13]
	global_load_dwordx4 v[48:51], v[60:61], off offset:960
	global_load_dwordx4 v[52:55], v[62:63], off offset:16
	v_add_co_u32_e32 v60, vcc, s14, v64
	v_lshlrev_b32_e32 v144, 1, v138
	s_nop 0
	v_addc_co_u32_e32 v61, vcc, 0, v65, vcc
	global_load_dwordx4 v[60:63], v[60:61], off offset:960
	v_lshl_add_u64 v[82:83], v[144:145], 4, s[8:9]
	s_waitcnt vmcnt(7) lgkmcnt(7)
	v_mul_f64 v[66:67], v[76:77], v[58:59]
	v_lshl_add_u64 v[64:65], v[64:65], 0, s[12:13]
	v_add_co_u32_e32 v78, vcc, s14, v82
	v_fma_f64 v[72:73], v[74:75], v[56:57], -v[66:67]
	global_load_dwordx4 v[64:67], v[64:65], off offset:16
	v_addc_co_u32_e32 v79, vcc, 0, v83, vcc
	v_mul_f64 v[58:59], v[74:75], v[58:59]
	global_load_dwordx4 v[78:81], v[78:79], off offset:960
	v_lshl_add_u64 v[74:75], v[82:83], 0, s[12:13]
	global_load_dwordx4 v[82:85], v[74:75], off offset:16
	v_lshlrev_b32_e32 v144, 1, v136
	v_lshl_add_u64 v[86:87], v[144:145], 4, s[8:9]
	v_add_co_u32_e32 v74, vcc, s14, v86
	v_fmac_f64_e32 v[58:59], v[76:77], v[56:57]
	v_lshl_add_u64 v[56:57], v[86:87], 0, s[12:13]
	v_lshlrev_b32_e32 v144, 1, v132
	v_addc_co_u32_e32 v75, vcc, 0, v87, vcc
	global_load_dwordx4 v[86:89], v[56:57], off offset:16
	v_lshl_add_u64 v[56:57], v[144:145], 4, s[8:9]
	global_load_dwordx4 v[74:77], v[74:75], off offset:960
	v_add_co_u32_e32 v90, vcc, s14, v56
	v_lshlrev_b32_e32 v144, 1, v130
	s_nop 0
	v_addc_co_u32_e32 v91, vcc, 0, v57, vcc
	global_load_dwordx4 v[90:93], v[90:91], off offset:960
	v_lshl_add_u64 v[56:57], v[56:57], 0, s[12:13]
	global_load_dwordx4 v[94:97], v[56:57], off offset:16
	v_lshl_add_u64 v[56:57], v[144:145], 4, s[8:9]
	v_add_co_u32_e32 v100, vcc, s14, v56
	s_waitcnt vmcnt(13) lgkmcnt(3)
	v_mul_f64 v[98:99], v[34:35], v[26:27]
	v_addc_co_u32_e32 v101, vcc, 0, v57, vcc
	v_fma_f64 v[146:147], v[32:33], v[24:25], -v[98:99]
	global_load_dwordx4 v[98:101], v[100:101], off offset:960
	v_lshl_add_u64 v[56:57], v[56:57], 0, s[12:13]
	v_lshlrev_b32_e32 v144, 1, v128
	global_load_dwordx4 v[102:105], v[56:57], off offset:16
	v_lshl_add_u64 v[56:57], v[144:145], 4, s[8:9]
	v_mul_f64 v[148:149], v[32:33], v[26:27]
	v_lshl_add_u64 v[26:27], v[56:57], 0, s[12:13]
	v_fmac_f64_e32 v[148:149], v[34:35], v[24:25]
	global_load_dwordx4 v[32:35], v[26:27], off offset:16
	v_add_co_u32_e32 v106, vcc, s14, v56
	s_waitcnt vmcnt(15)
	v_mul_f64 v[24:25], v[18:19], v[38:39]
	v_addc_co_u32_e32 v107, vcc, 0, v57, vcc
	global_load_dwordx4 v[106:109], v[106:107], off offset:960
	v_mul_f64 v[150:151], v[16:17], v[38:39]
	v_fma_f64 v[56:57], v[16:17], v[36:37], -v[24:25]
	v_fmac_f64_e32 v[150:151], v[18:19], v[36:37]
	ds_read_b128 v[24:27], v133
	ds_read_b128 v[16:19], v163
	v_cmp_ne_u32_e32 vcc, 0, v122
	s_waitcnt vmcnt(15) lgkmcnt(4)
	v_mul_f64 v[36:37], v[30:31], v[42:43]
	v_mul_f64 v[154:155], v[28:29], v[42:43]
	v_fma_f64 v[152:153], v[28:29], v[40:41], -v[36:37]
	v_fmac_f64_e32 v[154:155], v[30:31], v[40:41]
	ds_read_b128 v[28:31], v160 offset:28080
	ds_read_b128 v[36:39], v160 offset:30240
	s_waitcnt vmcnt(14) lgkmcnt(5)
	v_mul_f64 v[40:41], v[22:23], v[46:47]
	v_fma_f64 v[156:157], v[20:21], v[44:45], -v[40:41]
	v_mul_f64 v[46:47], v[20:21], v[46:47]
	v_fmac_f64_e32 v[46:47], v[22:23], v[44:45]
	s_waitcnt vmcnt(13) lgkmcnt(1)
	v_mul_f64 v[20:21], v[30:31], v[50:51]
	v_fma_f64 v[44:45], v[28:29], v[48:49], -v[20:21]
	v_mul_f64 v[50:51], v[28:29], v[50:51]
	s_waitcnt vmcnt(12)
	v_mul_f64 v[20:21], v[14:15], v[54:55]
	v_mul_f64 v[54:55], v[12:13], v[54:55]
	v_fmac_f64_e32 v[50:51], v[30:31], v[48:49]
	v_fma_f64 v[48:49], v[12:13], v[52:53], -v[20:21]
	v_fmac_f64_e32 v[54:55], v[14:15], v[52:53]
	ds_read_b128 v[12:15], v160 offset:51840
	s_waitcnt vmcnt(11) lgkmcnt(1)
	v_mul_f64 v[20:21], v[38:39], v[62:63]
	ds_read_b128 v[28:31], v160 offset:32400
	v_fma_f64 v[52:53], v[36:37], v[60:61], -v[20:21]
	ds_read_b128 v[20:23], v160 offset:54000
	v_mul_f64 v[62:63], v[36:37], v[62:63]
	s_waitcnt vmcnt(10) lgkmcnt(2)
	v_mul_f64 v[36:37], v[14:15], v[66:67]
	v_mul_f64 v[66:67], v[12:13], v[66:67]
	v_fmac_f64_e32 v[62:63], v[38:39], v[60:61]
	v_fma_f64 v[60:61], v[12:13], v[64:65], -v[36:37]
	v_fmac_f64_e32 v[66:67], v[14:15], v[64:65]
	ds_read_b128 v[12:15], v161
	s_waitcnt vmcnt(9) lgkmcnt(2)
	v_mul_f64 v[36:37], v[30:31], v[80:81]
	v_mul_f64 v[166:167], v[28:29], v[80:81]
	v_fma_f64 v[64:65], v[28:29], v[78:79], -v[36:37]
	v_fmac_f64_e32 v[166:167], v[30:31], v[78:79]
	s_waitcnt vmcnt(8) lgkmcnt(1)
	v_mul_f64 v[36:37], v[22:23], v[84:85]
	ds_read_b128 v[28:31], v160 offset:34560
	v_fma_f64 v[168:169], v[20:21], v[82:83], -v[36:37]
	v_mul_f64 v[170:171], v[20:21], v[84:85]
	ds_read_b128 v[36:39], v160 offset:56160
	v_fmac_f64_e32 v[170:171], v[22:23], v[82:83]
	ds_read_b128 v[20:23], v160 offset:36720
	s_waitcnt vmcnt(6) lgkmcnt(2)
	v_mul_f64 v[40:41], v[30:31], v[76:77]
	v_mul_f64 v[174:175], v[28:29], v[76:77]
	v_fma_f64 v[172:173], v[28:29], v[74:75], -v[40:41]
	v_fmac_f64_e32 v[174:175], v[30:31], v[74:75]
	ds_read_b128 v[28:31], v160 offset:58320
	s_waitcnt lgkmcnt(2)
	v_mul_f64 v[40:41], v[38:39], v[88:89]
	v_fma_f64 v[176:177], v[36:37], v[86:87], -v[40:41]
	v_mul_f64 v[178:179], v[36:37], v[88:89]
	s_waitcnt vmcnt(5) lgkmcnt(1)
	v_mul_f64 v[36:37], v[22:23], v[92:93]
	v_mul_f64 v[182:183], v[20:21], v[92:93]
	v_fma_f64 v[180:181], v[20:21], v[90:91], -v[36:37]
	v_fmac_f64_e32 v[182:183], v[22:23], v[90:91]
	ds_read_b128 v[20:23], v160 offset:38880
	s_waitcnt vmcnt(4) lgkmcnt(1)
	v_mul_f64 v[36:37], v[30:31], v[96:97]
	v_mul_f64 v[186:187], v[28:29], v[96:97]
	v_fmac_f64_e32 v[178:179], v[38:39], v[86:87]
	v_fma_f64 v[184:185], v[28:29], v[94:95], -v[36:37]
	v_fmac_f64_e32 v[186:187], v[30:31], v[94:95]
	ds_read_b128 v[28:31], v160 offset:41040
	s_waitcnt vmcnt(3) lgkmcnt(1)
	v_mul_f64 v[40:41], v[22:23], v[100:101]
	ds_read_b128 v[36:39], v160 offset:60480
	v_fma_f64 v[188:189], v[20:21], v[98:99], -v[40:41]
	ds_read_b128 v[40:43], v160 offset:62640
	v_mul_f64 v[190:191], v[20:21], v[100:101]
	v_fmac_f64_e32 v[190:191], v[22:23], v[98:99]
	s_waitcnt vmcnt(2) lgkmcnt(1)
	v_mul_f64 v[20:21], v[38:39], v[104:105]
	v_fma_f64 v[192:193], v[36:37], v[102:103], -v[20:21]
	v_mul_f64 v[194:195], v[36:37], v[104:105]
	s_waitcnt vmcnt(1) lgkmcnt(0)
	v_mul_f64 v[36:37], v[42:43], v[34:35]
	v_mul_f64 v[202:203], v[40:41], v[34:35]
	v_fma_f64 v[200:201], v[40:41], v[32:33], -v[36:37]
	v_fmac_f64_e32 v[202:203], v[42:43], v[32:33]
	v_add_f64 v[32:33], v[8:9], v[68:69]
	v_add_f64 v[116:117], v[32:33], v[72:73]
	;; [unrolled: 1-line block ×3, first 2 shown]
	v_fmac_f64_e32 v[8:9], -0.5, v[32:33]
	v_add_f64 v[32:33], v[70:71], -v[58:59]
	s_waitcnt vmcnt(0)
	v_mul_f64 v[20:21], v[30:31], v[108:109]
	v_mul_f64 v[198:199], v[28:29], v[108:109]
	v_fma_f64 v[108:109], s[4:5], v[32:33], v[8:9]
	v_fmac_f64_e32 v[8:9], s[10:11], v[32:33]
	v_add_f64 v[32:33], v[10:11], v[70:71]
	v_add_f64 v[118:119], v[32:33], v[58:59]
	v_add_f64 v[32:33], v[70:71], v[58:59]
	v_fmac_f64_e32 v[10:11], -0.5, v[32:33]
	v_add_f64 v[32:33], v[68:69], -v[72:73]
	v_fma_f64 v[110:111], s[10:11], v[32:33], v[10:11]
	v_fmac_f64_e32 v[10:11], s[4:5], v[32:33]
	v_add_f64 v[32:33], v[4:5], v[146:147]
	v_add_f64 v[112:113], v[32:33], v[56:57]
	v_add_f64 v[32:33], v[146:147], v[56:57]
	v_fmac_f64_e32 v[4:5], -0.5, v[32:33]
	v_add_f64 v[32:33], v[148:149], -v[150:151]
	;; [unrolled: 7-line block ×3, first 2 shown]
	v_fma_f64 v[196:197], v[28:29], v[106:107], -v[20:21]
	v_fmac_f64_e32 v[198:199], v[30:31], v[106:107]
	v_fma_f64 v[106:107], s[10:11], v[32:33], v[6:7]
	v_fmac_f64_e32 v[6:7], s[4:5], v[32:33]
	v_add_f64 v[32:33], v[0:1], v[152:153]
	v_add_f64 v[100:101], v[32:33], v[156:157]
	;; [unrolled: 1-line block ×3, first 2 shown]
	v_fmac_f64_e32 v[0:1], -0.5, v[32:33]
	v_add_f64 v[32:33], v[154:155], -v[46:47]
	v_fma_f64 v[96:97], s[4:5], v[32:33], v[0:1]
	v_fmac_f64_e32 v[0:1], s[10:11], v[32:33]
	v_add_f64 v[32:33], v[2:3], v[154:155]
	v_fmac_f64_e32 v[194:195], v[38:39], v[102:103]
	v_add_f64 v[102:103], v[32:33], v[46:47]
	v_add_f64 v[32:33], v[154:155], v[46:47]
	v_fmac_f64_e32 v[2:3], -0.5, v[32:33]
	v_add_f64 v[32:33], v[152:153], -v[156:157]
	v_fma_f64 v[98:99], s[10:11], v[32:33], v[2:3]
	v_fmac_f64_e32 v[2:3], s[4:5], v[32:33]
	v_add_f64 v[32:33], v[24:25], v[44:45]
	v_add_f64 v[92:93], v[32:33], v[48:49]
	v_add_f64 v[32:33], v[44:45], v[48:49]
	v_fmac_f64_e32 v[24:25], -0.5, v[32:33]
	v_add_f64 v[32:33], v[50:51], -v[54:55]
	v_fma_f64 v[88:89], s[4:5], v[32:33], v[24:25]
	v_fmac_f64_e32 v[24:25], s[10:11], v[32:33]
	v_add_f64 v[32:33], v[26:27], v[50:51]
	;; [unrolled: 7-line block ×3, first 2 shown]
	v_add_f64 v[84:85], v[32:33], v[60:61]
	v_add_f64 v[32:33], v[52:53], v[60:61]
	ds_read_b128 v[28:31], v162
	ds_read_b128 v[20:23], v164
	v_fmac_f64_e32 v[16:17], -0.5, v[32:33]
	v_add_f64 v[32:33], v[62:63], -v[66:67]
	v_fma_f64 v[80:81], s[4:5], v[32:33], v[16:17]
	v_fmac_f64_e32 v[16:17], s[10:11], v[32:33]
	v_add_f64 v[32:33], v[18:19], v[62:63]
	v_add_f64 v[86:87], v[32:33], v[66:67]
	;; [unrolled: 1-line block ×3, first 2 shown]
	v_fmac_f64_e32 v[18:19], -0.5, v[32:33]
	v_add_f64 v[32:33], v[52:53], -v[60:61]
	v_fma_f64 v[82:83], s[10:11], v[32:33], v[18:19]
	v_fmac_f64_e32 v[18:19], s[4:5], v[32:33]
	s_waitcnt lgkmcnt(1)
	v_add_f64 v[32:33], v[28:29], v[64:65]
	v_add_f64 v[76:77], v[32:33], v[168:169]
	v_add_f64 v[32:33], v[64:65], v[168:169]
	v_fmac_f64_e32 v[28:29], -0.5, v[32:33]
	v_add_f64 v[32:33], v[166:167], -v[170:171]
	v_fma_f64 v[72:73], s[4:5], v[32:33], v[28:29]
	v_fmac_f64_e32 v[28:29], s[10:11], v[32:33]
	v_add_f64 v[32:33], v[30:31], v[166:167]
	v_add_f64 v[78:79], v[32:33], v[170:171]
	v_add_f64 v[32:33], v[166:167], v[170:171]
	v_fmac_f64_e32 v[30:31], -0.5, v[32:33]
	v_add_f64 v[32:33], v[64:65], -v[168:169]
	v_fma_f64 v[74:75], s[10:11], v[32:33], v[30:31]
	v_fmac_f64_e32 v[30:31], s[4:5], v[32:33]
	;; [unrolled: 7-line block ×4, first 2 shown]
	s_waitcnt lgkmcnt(0)
	v_add_f64 v[32:33], v[20:21], v[180:181]
	v_add_f64 v[60:61], v[32:33], v[184:185]
	v_add_f64 v[32:33], v[180:181], v[184:185]
	v_fmac_f64_e32 v[20:21], -0.5, v[32:33]
	v_add_f64 v[32:33], v[182:183], -v[186:187]
	v_fma_f64 v[56:57], s[4:5], v[32:33], v[20:21]
	v_fmac_f64_e32 v[20:21], s[10:11], v[32:33]
	v_add_f64 v[32:33], v[22:23], v[182:183]
	v_add_f64 v[62:63], v[32:33], v[186:187]
	;; [unrolled: 1-line block ×3, first 2 shown]
	v_fmac_f64_e32 v[22:23], -0.5, v[32:33]
	ds_read_b128 v[32:35], v159
	v_add_f64 v[36:37], v[180:181], -v[184:185]
	v_fma_f64 v[58:59], s[10:11], v[36:37], v[22:23]
	v_fmac_f64_e32 v[22:23], s[4:5], v[36:37]
	ds_read_b128 v[36:39], v158
	s_waitcnt lgkmcnt(1)
	v_add_f64 v[40:41], v[32:33], v[188:189]
	v_add_f64 v[52:53], v[40:41], v[192:193]
	;; [unrolled: 1-line block ×6, first 2 shown]
	v_fmac_f64_e32 v[34:35], -0.5, v[40:41]
	v_add_f64 v[40:41], v[188:189], -v[192:193]
	v_fmac_f64_e32 v[32:33], -0.5, v[42:43]
	v_add_f64 v[42:43], v[190:191], -v[194:195]
	v_fma_f64 v[46:47], s[10:11], v[40:41], v[34:35]
	v_fmac_f64_e32 v[34:35], s[4:5], v[40:41]
	v_add_f64 v[40:41], v[196:197], v[200:201]
	v_fma_f64 v[44:45], s[4:5], v[42:43], v[32:33]
	v_fmac_f64_e32 v[32:33], s[10:11], v[42:43]
	s_waitcnt lgkmcnt(0)
	v_add_f64 v[42:43], v[36:37], v[196:197]
	v_fmac_f64_e32 v[36:37], -0.5, v[40:41]
	v_add_f64 v[48:49], v[198:199], -v[202:203]
	v_fma_f64 v[40:41], s[4:5], v[48:49], v[36:37]
	v_fmac_f64_e32 v[36:37], s[10:11], v[48:49]
	v_add_f64 v[48:49], v[42:43], v[200:201]
	v_add_f64 v[42:43], v[38:39], v[198:199]
	;; [unrolled: 1-line block ×4, first 2 shown]
	v_fmac_f64_e32 v[38:39], -0.5, v[42:43]
	v_add_f64 v[146:147], v[196:197], -v[200:201]
	v_fma_f64 v[42:43], s[10:11], v[146:147], v[38:39]
	v_fmac_f64_e32 v[38:39], s[4:5], v[146:147]
	s_barrier
	ds_write_b128 v160, v[116:119]
	ds_write_b128 v160, v[108:111] offset:21600
	ds_write_b128 v160, v[8:11] offset:43200
	ds_write_b128 v127, v[112:115]
	ds_write_b128 v127, v[104:107] offset:21600
	ds_write_b128 v127, v[4:7] offset:43200
	;; [unrolled: 3-line block ×10, first 2 shown]
	s_waitcnt lgkmcnt(0)
	s_barrier
	ds_read_b128 v[4:7], v160
	s_add_u32 s4, s8, 0xfc80
	s_addc_u32 s5, s9, 0
	v_sub_u32_e32 v20, 0, v123
                                        ; implicit-def: $vgpr2_vgpr3
                                        ; implicit-def: $vgpr12_vgpr13
	s_and_saveexec_b64 s[8:9], vcc
	s_xor_b64 s[8:9], exec, s[8:9]
	s_cbranch_execz .LBB0_15
; %bb.14:
	v_mov_b32_e32 v123, v145
	v_lshl_add_u64 v[0:1], v[122:123], 4, s[4:5]
	global_load_dwordx4 v[8:11], v[0:1], off
	ds_read_b128 v[0:3], v20 offset:64800
	s_waitcnt lgkmcnt(0)
	v_add_f64 v[14:15], v[4:5], v[0:1]
	v_add_f64 v[0:1], v[4:5], -v[0:1]
	v_add_f64 v[12:13], v[6:7], v[2:3]
	v_add_f64 v[2:3], v[6:7], -v[2:3]
	v_mul_f64 v[6:7], v[0:1], 0.5
	v_mul_f64 v[0:1], v[2:3], 0.5
	;; [unrolled: 1-line block ×3, first 2 shown]
	s_waitcnt vmcnt(0)
	v_mul_f64 v[2:3], v[6:7], v[10:11]
	v_fma_f64 v[16:17], 0.5, v[14:15], v[2:3]
	v_fma_f64 v[12:13], v[4:5], v[10:11], v[0:1]
	v_fma_f64 v[10:11], v[4:5], v[10:11], -v[0:1]
	v_fma_f64 v[0:1], v[14:15], 0.5, -v[2:3]
	v_fmac_f64_e32 v[16:17], v[4:5], v[8:9]
	v_fma_f64 v[12:13], -v[8:9], v[6:7], v[12:13]
	v_fma_f64 v[0:1], -v[4:5], v[8:9], v[0:1]
	ds_write_b64 v160, v[16:17]
	v_fma_f64 v[2:3], -v[8:9], v[6:7], v[10:11]
                                        ; implicit-def: $vgpr4_vgpr5
.LBB0_15:
	s_or_saveexec_b64 s[8:9], s[8:9]
	v_mul_i32_i24_e32 v14, 0xffffff70, v126
	v_mul_i32_i24_e32 v15, 0xffffff70, v142
	s_xor_b64 exec, exec, s[8:9]
	s_cbranch_execz .LBB0_17
; %bb.16:
	v_mov_b32_e32 v10, 0
	ds_read_b64 v[2:3], v10 offset:32408
	v_mov_b64_e32 v[12:13], 0
	s_waitcnt lgkmcnt(1)
	v_add_f64 v[8:9], v[4:5], v[6:7]
	v_add_f64 v[0:1], v[4:5], -v[6:7]
	ds_write_b64 v160, v[8:9]
	s_waitcnt lgkmcnt(1)
	v_xor_b32_e32 v3, 0x80000000, v3
	ds_write_b64 v10, v[2:3] offset:32408
	v_mov_b64_e32 v[2:3], v[12:13]
.LBB0_17:
	s_or_b64 exec, exec, s[8:9]
	v_mov_b32_e32 v127, 0
	s_waitcnt lgkmcnt(0)
	v_lshl_add_u64 v[4:5], v[126:127], 4, s[4:5]
	global_load_dwordx4 v[4:7], v[4:5], off
	v_mov_b32_e32 v143, v127
	v_lshl_add_u64 v[8:9], v[142:143], 4, s[4:5]
	global_load_dwordx4 v[22:25], v[8:9], off
	v_mov_b32_e32 v141, v127
	;; [unrolled: 3-line block ×3, first 2 shown]
	ds_write_b64 v160, v[12:13] offset:8
	ds_write_b128 v20, v[0:3] offset:64800
	v_add_u32_e32 v21, v129, v14
	v_lshl_add_u64 v[0:1], v[134:135], 4, s[4:5]
	ds_read_b128 v[16:19], v21
	ds_read_b128 v[26:29], v20 offset:62640
	global_load_dwordx4 v[0:3], v[0:1], off
	v_add_u32_e32 v32, v131, v15
	v_mov_b32_e32 v139, v127
	v_mov_b32_e32 v137, v127
	s_waitcnt lgkmcnt(0)
	v_add_f64 v[14:15], v[16:17], -v[26:27]
	v_add_f64 v[30:31], v[16:17], v[26:27]
	v_add_f64 v[12:13], v[18:19], v[28:29]
	v_add_f64 v[16:17], v[18:19], -v[28:29]
	v_mul_f64 v[26:27], v[14:15], 0.5
	v_mul_f64 v[18:19], v[12:13], 0.5
	;; [unrolled: 1-line block ×3, first 2 shown]
	v_mov_b32_e32 v131, v127
	v_mov_b32_e32 v129, v127
	v_add_u32_e32 v126, 0x546, v122
	s_waitcnt vmcnt(3)
	v_mul_f64 v[16:17], v[26:27], v[6:7]
	v_fma_f64 v[14:15], v[18:19], v[6:7], v[12:13]
	v_fma_f64 v[6:7], v[18:19], v[6:7], -v[12:13]
	v_fma_f64 v[12:13], 0.5, v[30:31], v[16:17]
	v_fma_f64 v[14:15], -v[4:5], v[26:27], v[14:15]
	v_fma_f64 v[16:17], v[30:31], 0.5, -v[16:17]
	v_fmac_f64_e32 v[12:13], v[18:19], v[4:5]
	v_fma_f64 v[6:7], -v[4:5], v[26:27], v[6:7]
	v_fma_f64 v[4:5], -v[18:19], v[4:5], v[16:17]
	ds_write_b128 v21, v[12:15]
	ds_write_b128 v20, v[4:7] offset:62640
	v_lshl_add_u64 v[16:17], v[138:139], 4, s[4:5]
	ds_read_b128 v[4:7], v32
	ds_read_b128 v[12:15], v20 offset:60480
	global_load_dwordx4 v[16:19], v[16:17], off
	s_waitcnt lgkmcnt(0)
	v_add_f64 v[26:27], v[4:5], v[12:13]
	v_add_f64 v[4:5], v[4:5], -v[12:13]
	v_add_f64 v[28:29], v[6:7], v[14:15]
	v_add_f64 v[6:7], v[6:7], -v[14:15]
	v_mul_f64 v[14:15], v[4:5], 0.5
	v_mul_f64 v[12:13], v[28:29], 0.5
	;; [unrolled: 1-line block ×3, first 2 shown]
	s_waitcnt vmcnt(3)
	v_mul_f64 v[28:29], v[14:15], v[24:25]
	v_fma_f64 v[6:7], v[12:13], v[24:25], v[4:5]
	v_fma_f64 v[24:25], v[12:13], v[24:25], -v[4:5]
	v_fma_f64 v[4:5], 0.5, v[26:27], v[28:29]
	v_fma_f64 v[6:7], -v[22:23], v[14:15], v[6:7]
	v_fma_f64 v[26:27], v[26:27], 0.5, -v[28:29]
	v_fmac_f64_e32 v[4:5], v[12:13], v[22:23]
	v_fma_f64 v[14:15], -v[22:23], v[14:15], v[24:25]
	v_fma_f64 v[12:13], -v[12:13], v[22:23], v[26:27]
	ds_write_b128 v32, v[4:7]
	ds_write_b128 v20, v[12:15] offset:60480
	v_lshl_add_u64 v[4:5], v[136:137], 4, s[4:5]
	ds_read_b128 v[12:15], v133
	ds_read_b128 v[22:25], v20 offset:58320
	global_load_dwordx4 v[4:7], v[4:5], off
	s_waitcnt lgkmcnt(0)
	v_add_f64 v[26:27], v[12:13], v[22:23]
	v_add_f64 v[12:13], v[12:13], -v[22:23]
	v_add_f64 v[28:29], v[14:15], v[24:25]
	v_add_f64 v[14:15], v[14:15], -v[24:25]
	v_mul_f64 v[24:25], v[12:13], 0.5
	v_mul_f64 v[22:23], v[28:29], 0.5
	;; [unrolled: 1-line block ×3, first 2 shown]
	s_waitcnt vmcnt(3)
	v_mul_f64 v[14:15], v[24:25], v[10:11]
	v_fma_f64 v[28:29], v[22:23], v[10:11], v[12:13]
	v_fma_f64 v[30:31], v[22:23], v[10:11], -v[12:13]
	v_fma_f64 v[10:11], 0.5, v[26:27], v[14:15]
	v_fma_f64 v[12:13], -v[8:9], v[24:25], v[28:29]
	v_fma_f64 v[14:15], v[26:27], 0.5, -v[14:15]
	v_fmac_f64_e32 v[10:11], v[22:23], v[8:9]
	v_fma_f64 v[24:25], -v[8:9], v[24:25], v[30:31]
	v_fma_f64 v[22:23], -v[22:23], v[8:9], v[14:15]
	ds_write_b128 v133, v[10:13]
	ds_write_b128 v20, v[22:25] offset:58320
	v_mov_b32_e32 v133, v127
	v_lshl_add_u64 v[8:9], v[132:133], 4, s[4:5]
	ds_read_b128 v[12:15], v163
	ds_read_b128 v[22:25], v20 offset:56160
	global_load_dwordx4 v[8:11], v[8:9], off
	s_waitcnt lgkmcnt(0)
	v_add_f64 v[26:27], v[12:13], v[22:23]
	v_add_f64 v[12:13], v[12:13], -v[22:23]
	v_add_f64 v[28:29], v[14:15], v[24:25]
	v_add_f64 v[14:15], v[14:15], -v[24:25]
	v_mul_f64 v[24:25], v[12:13], 0.5
	v_mul_f64 v[22:23], v[28:29], 0.5
	;; [unrolled: 1-line block ×3, first 2 shown]
	s_waitcnt vmcnt(3)
	v_mul_f64 v[28:29], v[24:25], v[2:3]
	v_fma_f64 v[14:15], v[22:23], v[2:3], v[12:13]
	v_fma_f64 v[2:3], v[22:23], v[2:3], -v[12:13]
	v_fma_f64 v[12:13], 0.5, v[26:27], v[28:29]
	v_fma_f64 v[14:15], -v[0:1], v[24:25], v[14:15]
	v_fma_f64 v[26:27], v[26:27], 0.5, -v[28:29]
	v_fmac_f64_e32 v[12:13], v[22:23], v[0:1]
	v_fma_f64 v[2:3], -v[0:1], v[24:25], v[2:3]
	v_fma_f64 v[0:1], -v[22:23], v[0:1], v[26:27]
	ds_write_b128 v163, v[12:15]
	ds_write_b128 v20, v[0:3] offset:56160
	v_lshl_add_u64 v[12:13], v[130:131], 4, s[4:5]
	ds_read_b128 v[0:3], v162
	ds_read_b128 v[22:25], v20 offset:54000
	global_load_dwordx4 v[12:15], v[12:13], off
	s_waitcnt lgkmcnt(0)
	v_add_f64 v[26:27], v[0:1], v[22:23]
	v_add_f64 v[0:1], v[0:1], -v[22:23]
	v_add_f64 v[28:29], v[2:3], v[24:25]
	v_add_f64 v[2:3], v[2:3], -v[24:25]
	v_mul_f64 v[24:25], v[0:1], 0.5
	v_mul_f64 v[22:23], v[28:29], 0.5
	;; [unrolled: 1-line block ×3, first 2 shown]
	s_waitcnt vmcnt(3)
	v_mul_f64 v[28:29], v[24:25], v[18:19]
	v_fma_f64 v[2:3], v[22:23], v[18:19], v[0:1]
	v_fma_f64 v[18:19], v[22:23], v[18:19], -v[0:1]
	v_fma_f64 v[0:1], 0.5, v[26:27], v[28:29]
	v_fma_f64 v[2:3], -v[16:17], v[24:25], v[2:3]
	v_fma_f64 v[26:27], v[26:27], 0.5, -v[28:29]
	v_fmac_f64_e32 v[0:1], v[22:23], v[16:17]
	v_fma_f64 v[18:19], -v[16:17], v[24:25], v[18:19]
	v_fma_f64 v[16:17], -v[22:23], v[16:17], v[26:27]
	ds_write_b128 v162, v[0:3]
	ds_write_b128 v20, v[16:19] offset:54000
	v_lshl_add_u64 v[0:1], v[128:129], 4, s[4:5]
	ds_read_b128 v[16:19], v161
	ds_read_b128 v[22:25], v20 offset:51840
	global_load_dwordx4 v[0:3], v[0:1], off
	s_waitcnt lgkmcnt(0)
	v_add_f64 v[26:27], v[16:17], v[22:23]
	v_add_f64 v[16:17], v[16:17], -v[22:23]
	v_add_f64 v[28:29], v[18:19], v[24:25]
	v_add_f64 v[18:19], v[18:19], -v[24:25]
	v_mul_f64 v[24:25], v[16:17], 0.5
	v_mul_f64 v[22:23], v[28:29], 0.5
	v_mul_f64 v[28:29], v[18:19], 0.5
	s_waitcnt vmcnt(3)
	v_mul_f64 v[30:31], v[24:25], v[6:7]
	v_fma_f64 v[16:17], 0.5, v[26:27], v[30:31]
	v_fma_f64 v[18:19], v[22:23], v[6:7], v[28:29]
	v_fmac_f64_e32 v[16:17], v[22:23], v[4:5]
	v_fma_f64 v[18:19], -v[4:5], v[24:25], v[18:19]
	ds_write_b128 v161, v[16:19]
	v_fma_f64 v[16:17], v[26:27], 0.5, -v[30:31]
	v_fma_f64 v[6:7], v[22:23], v[6:7], -v[28:29]
	v_fma_f64 v[16:17], -v[22:23], v[4:5], v[16:17]
	v_fma_f64 v[18:19], -v[4:5], v[24:25], v[6:7]
	ds_write_b128 v20, v[16:19] offset:51840
	v_lshl_add_u64 v[4:5], v[126:127], 4, s[4:5]
	ds_read_b128 v[16:19], v164
	ds_read_b128 v[22:25], v20 offset:49680
	global_load_dwordx4 v[4:7], v[4:5], off
	v_add_u32_e32 v126, 0x5cd, v122
	s_waitcnt lgkmcnt(0)
	v_add_f64 v[26:27], v[16:17], v[22:23]
	v_add_f64 v[16:17], v[16:17], -v[22:23]
	v_add_f64 v[28:29], v[18:19], v[24:25]
	v_add_f64 v[18:19], v[18:19], -v[24:25]
	v_mul_f64 v[22:23], v[16:17], 0.5
	v_mul_f64 v[28:29], v[28:29], 0.5
	v_mul_f64 v[24:25], v[18:19], 0.5
	s_waitcnt vmcnt(3)
	v_mul_f64 v[30:31], v[22:23], v[10:11]
	v_fma_f64 v[16:17], 0.5, v[26:27], v[30:31]
	v_fma_f64 v[18:19], v[28:29], v[10:11], v[24:25]
	v_fmac_f64_e32 v[16:17], v[28:29], v[8:9]
	v_fma_f64 v[18:19], -v[8:9], v[22:23], v[18:19]
	ds_write_b128 v164, v[16:19]
	v_fma_f64 v[16:17], v[26:27], 0.5, -v[30:31]
	v_fma_f64 v[10:11], v[28:29], v[10:11], -v[24:25]
	v_fma_f64 v[16:17], -v[28:29], v[8:9], v[16:17]
	v_fma_f64 v[18:19], -v[8:9], v[22:23], v[10:11]
	ds_write_b128 v20, v[16:19] offset:49680
	v_lshl_add_u64 v[8:9], v[126:127], 4, s[4:5]
	ds_read_b128 v[16:19], v159
	ds_read_b128 v[22:25], v20 offset:47520
	global_load_dwordx4 v[8:11], v[8:9], off
	v_add_u32_e32 v126, 0x654, v122
	s_waitcnt lgkmcnt(0)
	v_add_f64 v[26:27], v[16:17], v[22:23]
	v_add_f64 v[16:17], v[16:17], -v[22:23]
	v_add_f64 v[28:29], v[18:19], v[24:25]
	v_add_f64 v[18:19], v[18:19], -v[24:25]
	v_mul_f64 v[22:23], v[16:17], 0.5
	v_mul_f64 v[28:29], v[28:29], 0.5
	v_mul_f64 v[24:25], v[18:19], 0.5
	s_waitcnt vmcnt(3)
	v_mul_f64 v[30:31], v[22:23], v[14:15]
	v_fma_f64 v[16:17], 0.5, v[26:27], v[30:31]
	v_fma_f64 v[18:19], v[28:29], v[14:15], v[24:25]
	v_fmac_f64_e32 v[16:17], v[28:29], v[12:13]
	v_fma_f64 v[18:19], -v[12:13], v[22:23], v[18:19]
	ds_write_b128 v159, v[16:19]
	v_fma_f64 v[16:17], v[26:27], 0.5, -v[30:31]
	v_fma_f64 v[14:15], v[28:29], v[14:15], -v[24:25]
	v_fma_f64 v[16:17], -v[28:29], v[12:13], v[16:17]
	v_fma_f64 v[18:19], -v[12:13], v[22:23], v[14:15]
	ds_write_b128 v20, v[16:19] offset:47520
	v_lshl_add_u64 v[22:23], v[126:127], 4, s[4:5]
	ds_read_b128 v[12:15], v158
	ds_read_b128 v[16:19], v20 offset:45360
	global_load_dwordx4 v[22:25], v[22:23], off
	v_add_u32_e32 v126, 0x6db, v122
	s_waitcnt lgkmcnt(0)
	v_add_f64 v[26:27], v[12:13], v[16:17]
	v_add_f64 v[12:13], v[12:13], -v[16:17]
	v_add_f64 v[28:29], v[14:15], v[18:19]
	v_add_f64 v[14:15], v[14:15], -v[18:19]
	v_mul_f64 v[16:17], v[12:13], 0.5
	v_mul_f64 v[28:29], v[28:29], 0.5
	;; [unrolled: 1-line block ×3, first 2 shown]
	s_waitcnt vmcnt(3)
	v_mul_f64 v[30:31], v[16:17], v[2:3]
	v_fma_f64 v[12:13], 0.5, v[26:27], v[30:31]
	v_fma_f64 v[14:15], v[28:29], v[2:3], v[18:19]
	v_fmac_f64_e32 v[12:13], v[28:29], v[0:1]
	v_fma_f64 v[14:15], -v[0:1], v[16:17], v[14:15]
	ds_write_b128 v158, v[12:15]
	v_fma_f64 v[12:13], v[26:27], 0.5, -v[30:31]
	v_fma_f64 v[2:3], v[28:29], v[2:3], -v[18:19]
	v_fma_f64 v[12:13], -v[28:29], v[0:1], v[12:13]
	v_fma_f64 v[14:15], -v[0:1], v[16:17], v[2:3]
	ds_write_b128 v20, v[12:15] offset:45360
	v_lshl_add_u64 v[16:17], v[126:127], 4, s[4:5]
	ds_read_b128 v[0:3], v160 offset:21600
	ds_read_b128 v[12:15], v20 offset:43200
	global_load_dwordx4 v[16:19], v[16:17], off
	v_add_u32_e32 v126, 0x762, v122
	s_waitcnt lgkmcnt(0)
	v_add_f64 v[26:27], v[0:1], v[12:13]
	v_add_f64 v[0:1], v[0:1], -v[12:13]
	v_add_f64 v[28:29], v[2:3], v[14:15]
	v_add_f64 v[2:3], v[2:3], -v[14:15]
	v_mul_f64 v[12:13], v[0:1], 0.5
	v_mul_f64 v[28:29], v[28:29], 0.5
	;; [unrolled: 1-line block ×3, first 2 shown]
	s_waitcnt vmcnt(3)
	v_mul_f64 v[30:31], v[12:13], v[6:7]
	v_fma_f64 v[0:1], 0.5, v[26:27], v[30:31]
	v_fma_f64 v[2:3], v[28:29], v[6:7], v[14:15]
	v_fmac_f64_e32 v[0:1], v[28:29], v[4:5]
	v_fma_f64 v[2:3], -v[4:5], v[12:13], v[2:3]
	ds_write_b128 v160, v[0:3] offset:21600
	v_fma_f64 v[0:1], v[26:27], 0.5, -v[30:31]
	v_fma_f64 v[2:3], v[28:29], v[6:7], -v[14:15]
	v_fma_f64 v[0:1], -v[28:29], v[4:5], v[0:1]
	v_fma_f64 v[2:3], -v[4:5], v[12:13], v[2:3]
	ds_write_b128 v20, v[0:3] offset:43200
	v_lshl_add_u64 v[12:13], v[126:127], 4, s[4:5]
	ds_read_b128 v[0:3], v160 offset:23760
	ds_read_b128 v[4:7], v20 offset:41040
	global_load_dwordx4 v[12:15], v[12:13], off
	s_waitcnt lgkmcnt(0)
	v_add_f64 v[26:27], v[0:1], v[4:5]
	v_add_f64 v[0:1], v[0:1], -v[4:5]
	v_add_f64 v[28:29], v[2:3], v[6:7]
	v_add_f64 v[2:3], v[2:3], -v[6:7]
	v_mul_f64 v[4:5], v[0:1], 0.5
	v_mul_f64 v[28:29], v[28:29], 0.5
	v_mul_f64 v[6:7], v[2:3], 0.5
	s_waitcnt vmcnt(3)
	v_mul_f64 v[30:31], v[4:5], v[10:11]
	v_fma_f64 v[0:1], 0.5, v[26:27], v[30:31]
	v_fma_f64 v[2:3], v[28:29], v[10:11], v[6:7]
	v_fmac_f64_e32 v[0:1], v[28:29], v[8:9]
	v_fma_f64 v[2:3], -v[8:9], v[4:5], v[2:3]
	ds_write_b128 v160, v[0:3] offset:23760
	v_fma_f64 v[0:1], v[26:27], 0.5, -v[30:31]
	v_fma_f64 v[2:3], v[28:29], v[10:11], -v[6:7]
	v_fma_f64 v[0:1], -v[28:29], v[8:9], v[0:1]
	v_fma_f64 v[2:3], -v[8:9], v[4:5], v[2:3]
	ds_write_b128 v20, v[0:3] offset:41040
	ds_read_b128 v[0:3], v160 offset:25920
	ds_read_b128 v[4:7], v20 offset:38880
	s_waitcnt lgkmcnt(0)
	v_add_f64 v[8:9], v[0:1], v[4:5]
	v_add_f64 v[0:1], v[0:1], -v[4:5]
	v_add_f64 v[10:11], v[2:3], v[6:7]
	v_add_f64 v[2:3], v[2:3], -v[6:7]
	v_mul_f64 v[4:5], v[0:1], 0.5
	v_mul_f64 v[10:11], v[10:11], 0.5
	v_mul_f64 v[6:7], v[2:3], 0.5
	s_waitcnt vmcnt(2)
	v_mul_f64 v[26:27], v[4:5], v[24:25]
	v_fma_f64 v[0:1], 0.5, v[8:9], v[26:27]
	v_fma_f64 v[2:3], v[10:11], v[24:25], v[6:7]
	v_fmac_f64_e32 v[0:1], v[10:11], v[22:23]
	v_fma_f64 v[2:3], -v[22:23], v[4:5], v[2:3]
	ds_write_b128 v160, v[0:3] offset:25920
	v_fma_f64 v[0:1], v[8:9], 0.5, -v[26:27]
	v_fma_f64 v[2:3], v[10:11], v[24:25], -v[6:7]
	v_fma_f64 v[0:1], -v[10:11], v[22:23], v[0:1]
	v_fma_f64 v[2:3], -v[22:23], v[4:5], v[2:3]
	ds_write_b128 v20, v[0:3] offset:38880
	ds_read_b128 v[0:3], v160 offset:28080
	ds_read_b128 v[4:7], v20 offset:36720
	;; [unrolled: 22-line block ×3, first 2 shown]
	s_waitcnt lgkmcnt(0)
	v_add_f64 v[8:9], v[0:1], v[4:5]
	v_add_f64 v[0:1], v[0:1], -v[4:5]
	v_add_f64 v[10:11], v[2:3], v[6:7]
	v_add_f64 v[2:3], v[2:3], -v[6:7]
	v_mul_f64 v[4:5], v[0:1], 0.5
	v_mul_f64 v[10:11], v[10:11], 0.5
	;; [unrolled: 1-line block ×3, first 2 shown]
	s_waitcnt vmcnt(0)
	v_mul_f64 v[16:17], v[4:5], v[14:15]
	v_fma_f64 v[0:1], 0.5, v[8:9], v[16:17]
	v_fma_f64 v[2:3], v[10:11], v[14:15], v[6:7]
	v_fmac_f64_e32 v[0:1], v[10:11], v[12:13]
	v_fma_f64 v[2:3], -v[12:13], v[4:5], v[2:3]
	ds_write_b128 v160, v[0:3] offset:30240
	v_fma_f64 v[0:1], v[8:9], 0.5, -v[16:17]
	v_fma_f64 v[2:3], v[10:11], v[14:15], -v[6:7]
	v_fma_f64 v[0:1], -v[10:11], v[12:13], v[0:1]
	v_fma_f64 v[2:3], -v[12:13], v[4:5], v[2:3]
	ds_write_b128 v20, v[0:3] offset:34560
	s_waitcnt lgkmcnt(0)
	s_barrier
	s_and_saveexec_b64 s[4:5], s[0:1]
	s_cbranch_execz .LBB0_20
; %bb.18:
	v_mul_lo_u32 v2, s3, v124
	v_mul_lo_u32 v3, s2, v125
	v_mad_u64_u32 v[0:1], s[0:1], s2, v124, 0
	v_lshl_add_u32 v12, v122, 4, 0
	v_add3_u32 v1, v1, v3, v2
	ds_read_b128 v[2:5], v12
	ds_read_b128 v[6:9], v12 offset:2160
	v_lshl_add_u64 v[0:1], v[0:1], 4, s[6:7]
	v_mov_b32_e32 v123, v127
	v_lshl_add_u64 v[0:1], v[120:121], 4, v[0:1]
	v_lshl_add_u64 v[10:11], v[122:123], 4, v[0:1]
	v_add_u32_e32 v126, 0x87, v122
	s_waitcnt lgkmcnt(1)
	global_store_dwordx4 v[10:11], v[2:5], off
	v_lshl_add_u64 v[10:11], v[126:127], 4, v[0:1]
	ds_read_b128 v[2:5], v12 offset:4320
	s_waitcnt lgkmcnt(1)
	global_store_dwordx4 v[10:11], v[6:9], off
	ds_read_b128 v[6:9], v12 offset:6480
	v_add_u32_e32 v126, 0x10e, v122
	v_lshl_add_u64 v[10:11], v[126:127], 4, v[0:1]
	v_add_u32_e32 v126, 0x195, v122
	s_waitcnt lgkmcnt(1)
	global_store_dwordx4 v[10:11], v[2:5], off
	v_lshl_add_u64 v[10:11], v[126:127], 4, v[0:1]
	ds_read_b128 v[2:5], v12 offset:8640
	s_waitcnt lgkmcnt(1)
	global_store_dwordx4 v[10:11], v[6:9], off
	ds_read_b128 v[6:9], v12 offset:10800
	v_add_u32_e32 v126, 0x21c, v122
	;; [unrolled: 10-line block ×14, first 2 shown]
	v_lshl_add_u64 v[10:11], v[126:127], 4, v[0:1]
	v_add_u32_e32 v126, 0xf4b, v122
	s_movk_i32 s0, 0x86
	s_waitcnt lgkmcnt(1)
	global_store_dwordx4 v[10:11], v[2:5], off
	v_cmp_eq_u32_e32 vcc, s0, v122
	s_nop 0
	v_lshl_add_u64 v[2:3], v[126:127], 4, v[0:1]
	s_waitcnt lgkmcnt(0)
	global_store_dwordx4 v[2:3], v[6:9], off
	s_and_b64 exec, exec, vcc
	s_cbranch_execz .LBB0_20
; %bb.19:
	v_mov_b32_e32 v2, 0
	ds_read_b128 v[2:5], v2 offset:64800
	v_add_co_u32_e32 v0, vcc, 0xf000, v0
	s_nop 1
	v_addc_co_u32_e32 v1, vcc, 0, v1, vcc
	s_waitcnt lgkmcnt(0)
	global_store_dwordx4 v[0:1], v[2:5], off offset:3360
.LBB0_20:
	s_endpgm
	.section	.rodata,"a",@progbits
	.p2align	6, 0x0
	.amdhsa_kernel fft_rtc_fwd_len4050_factors_10_5_3_3_3_3_wgs_135_tpt_135_halfLds_dp_op_CI_CI_unitstride_sbrr_R2C_dirReg
		.amdhsa_group_segment_fixed_size 0
		.amdhsa_private_segment_fixed_size 0
		.amdhsa_kernarg_size 104
		.amdhsa_user_sgpr_count 2
		.amdhsa_user_sgpr_dispatch_ptr 0
		.amdhsa_user_sgpr_queue_ptr 0
		.amdhsa_user_sgpr_kernarg_segment_ptr 1
		.amdhsa_user_sgpr_dispatch_id 0
		.amdhsa_user_sgpr_kernarg_preload_length 0
		.amdhsa_user_sgpr_kernarg_preload_offset 0
		.amdhsa_user_sgpr_private_segment_size 0
		.amdhsa_uses_dynamic_stack 0
		.amdhsa_enable_private_segment 0
		.amdhsa_system_sgpr_workgroup_id_x 1
		.amdhsa_system_sgpr_workgroup_id_y 0
		.amdhsa_system_sgpr_workgroup_id_z 0
		.amdhsa_system_sgpr_workgroup_info 0
		.amdhsa_system_vgpr_workitem_id 0
		.amdhsa_next_free_vgpr 204
		.amdhsa_next_free_sgpr 28
		.amdhsa_accum_offset 204
		.amdhsa_reserve_vcc 1
		.amdhsa_float_round_mode_32 0
		.amdhsa_float_round_mode_16_64 0
		.amdhsa_float_denorm_mode_32 3
		.amdhsa_float_denorm_mode_16_64 3
		.amdhsa_dx10_clamp 1
		.amdhsa_ieee_mode 1
		.amdhsa_fp16_overflow 0
		.amdhsa_tg_split 0
		.amdhsa_exception_fp_ieee_invalid_op 0
		.amdhsa_exception_fp_denorm_src 0
		.amdhsa_exception_fp_ieee_div_zero 0
		.amdhsa_exception_fp_ieee_overflow 0
		.amdhsa_exception_fp_ieee_underflow 0
		.amdhsa_exception_fp_ieee_inexact 0
		.amdhsa_exception_int_div_zero 0
	.end_amdhsa_kernel
	.text
.Lfunc_end0:
	.size	fft_rtc_fwd_len4050_factors_10_5_3_3_3_3_wgs_135_tpt_135_halfLds_dp_op_CI_CI_unitstride_sbrr_R2C_dirReg, .Lfunc_end0-fft_rtc_fwd_len4050_factors_10_5_3_3_3_3_wgs_135_tpt_135_halfLds_dp_op_CI_CI_unitstride_sbrr_R2C_dirReg
                                        ; -- End function
	.section	.AMDGPU.csdata,"",@progbits
; Kernel info:
; codeLenInByte = 24996
; NumSgprs: 34
; NumVgprs: 204
; NumAgprs: 0
; TotalNumVgprs: 204
; ScratchSize: 0
; MemoryBound: 0
; FloatMode: 240
; IeeeMode: 1
; LDSByteSize: 0 bytes/workgroup (compile time only)
; SGPRBlocks: 4
; VGPRBlocks: 25
; NumSGPRsForWavesPerEU: 34
; NumVGPRsForWavesPerEU: 204
; AccumOffset: 204
; Occupancy: 2
; WaveLimiterHint : 1
; COMPUTE_PGM_RSRC2:SCRATCH_EN: 0
; COMPUTE_PGM_RSRC2:USER_SGPR: 2
; COMPUTE_PGM_RSRC2:TRAP_HANDLER: 0
; COMPUTE_PGM_RSRC2:TGID_X_EN: 1
; COMPUTE_PGM_RSRC2:TGID_Y_EN: 0
; COMPUTE_PGM_RSRC2:TGID_Z_EN: 0
; COMPUTE_PGM_RSRC2:TIDIG_COMP_CNT: 0
; COMPUTE_PGM_RSRC3_GFX90A:ACCUM_OFFSET: 50
; COMPUTE_PGM_RSRC3_GFX90A:TG_SPLIT: 0
	.text
	.p2alignl 6, 3212836864
	.fill 256, 4, 3212836864
	.type	__hip_cuid_6285f4878f27d33,@object ; @__hip_cuid_6285f4878f27d33
	.section	.bss,"aw",@nobits
	.globl	__hip_cuid_6285f4878f27d33
__hip_cuid_6285f4878f27d33:
	.byte	0                               ; 0x0
	.size	__hip_cuid_6285f4878f27d33, 1

	.ident	"AMD clang version 19.0.0git (https://github.com/RadeonOpenCompute/llvm-project roc-6.4.0 25133 c7fe45cf4b819c5991fe208aaa96edf142730f1d)"
	.section	".note.GNU-stack","",@progbits
	.addrsig
	.addrsig_sym __hip_cuid_6285f4878f27d33
	.amdgpu_metadata
---
amdhsa.kernels:
  - .agpr_count:     0
    .args:
      - .actual_access:  read_only
        .address_space:  global
        .offset:         0
        .size:           8
        .value_kind:     global_buffer
      - .offset:         8
        .size:           8
        .value_kind:     by_value
      - .actual_access:  read_only
        .address_space:  global
        .offset:         16
        .size:           8
        .value_kind:     global_buffer
      - .actual_access:  read_only
        .address_space:  global
        .offset:         24
        .size:           8
        .value_kind:     global_buffer
      - .actual_access:  read_only
        .address_space:  global
        .offset:         32
        .size:           8
        .value_kind:     global_buffer
      - .offset:         40
        .size:           8
        .value_kind:     by_value
      - .actual_access:  read_only
        .address_space:  global
        .offset:         48
        .size:           8
        .value_kind:     global_buffer
      - .actual_access:  read_only
        .address_space:  global
        .offset:         56
        .size:           8
        .value_kind:     global_buffer
      - .offset:         64
        .size:           4
        .value_kind:     by_value
      - .actual_access:  read_only
        .address_space:  global
        .offset:         72
        .size:           8
        .value_kind:     global_buffer
      - .actual_access:  read_only
        .address_space:  global
        .offset:         80
        .size:           8
        .value_kind:     global_buffer
      - .actual_access:  read_only
        .address_space:  global
        .offset:         88
        .size:           8
        .value_kind:     global_buffer
      - .actual_access:  write_only
        .address_space:  global
        .offset:         96
        .size:           8
        .value_kind:     global_buffer
    .group_segment_fixed_size: 0
    .kernarg_segment_align: 8
    .kernarg_segment_size: 104
    .language:       OpenCL C
    .language_version:
      - 2
      - 0
    .max_flat_workgroup_size: 135
    .name:           fft_rtc_fwd_len4050_factors_10_5_3_3_3_3_wgs_135_tpt_135_halfLds_dp_op_CI_CI_unitstride_sbrr_R2C_dirReg
    .private_segment_fixed_size: 0
    .sgpr_count:     34
    .sgpr_spill_count: 0
    .symbol:         fft_rtc_fwd_len4050_factors_10_5_3_3_3_3_wgs_135_tpt_135_halfLds_dp_op_CI_CI_unitstride_sbrr_R2C_dirReg.kd
    .uniform_work_group_size: 1
    .uses_dynamic_stack: false
    .vgpr_count:     204
    .vgpr_spill_count: 0
    .wavefront_size: 64
amdhsa.target:   amdgcn-amd-amdhsa--gfx950
amdhsa.version:
  - 1
  - 2
...

	.end_amdgpu_metadata
